;; amdgpu-corpus repo=ROCm/hipCUB kind=compiled arch=gfx90a opt=O3
	.text
	.amdgcn_target "amdgcn-amd-amdhsa--gfx90a"
	.amdhsa_code_object_version 6
	.section	.text._Z20warp_exchange_kernelILj1024ELj5ELj64ELN6hipcub21WarpExchangeAlgorithmE0E18StripedToBlockedOp6__halfEvPT4_S5_,"axG",@progbits,_Z20warp_exchange_kernelILj1024ELj5ELj64ELN6hipcub21WarpExchangeAlgorithmE0E18StripedToBlockedOp6__halfEvPT4_S5_,comdat
	.protected	_Z20warp_exchange_kernelILj1024ELj5ELj64ELN6hipcub21WarpExchangeAlgorithmE0E18StripedToBlockedOp6__halfEvPT4_S5_ ; -- Begin function _Z20warp_exchange_kernelILj1024ELj5ELj64ELN6hipcub21WarpExchangeAlgorithmE0E18StripedToBlockedOp6__halfEvPT4_S5_
	.globl	_Z20warp_exchange_kernelILj1024ELj5ELj64ELN6hipcub21WarpExchangeAlgorithmE0E18StripedToBlockedOp6__halfEvPT4_S5_
	.p2align	8
	.type	_Z20warp_exchange_kernelILj1024ELj5ELj64ELN6hipcub21WarpExchangeAlgorithmE0E18StripedToBlockedOp6__halfEvPT4_S5_,@function
_Z20warp_exchange_kernelILj1024ELj5ELj64ELN6hipcub21WarpExchangeAlgorithmE0E18StripedToBlockedOp6__halfEvPT4_S5_: ; @_Z20warp_exchange_kernelILj1024ELj5ELj64ELN6hipcub21WarpExchangeAlgorithmE0E18StripedToBlockedOp6__halfEvPT4_S5_
; %bb.0:
	s_load_dwordx4 s[0:3], s[4:5], 0x0
	v_mul_u32_u24_e32 v1, 5, v0
	v_lshlrev_b32_e32 v4, 1, v1
	v_mbcnt_lo_u32_b32 v5, -1, 0
	v_mbcnt_hi_u32_b32 v5, -1, v5
	s_waitcnt lgkmcnt(0)
	global_load_dwordx2 v[2:3], v4, s[0:1]
	global_load_ushort v1, v4, s[0:1] offset:8
	s_movk_i32 s0, 0x280
	v_lshrrev_b32_e32 v0, 6, v0
	v_lshlrev_b32_e32 v6, 1, v5
	v_mul_u32_u24_e32 v5, 10, v5
	v_mad_u32_u24 v6, v0, s0, v6
	v_mad_u32_u24 v0, v0, s0, v5
	s_waitcnt vmcnt(1)
	ds_write_b16 v6, v2
	ds_write_b16_d16_hi v6, v2 offset:128
	ds_write_b16 v6, v3 offset:256
	ds_write_b16_d16_hi v6, v3 offset:384
	s_waitcnt vmcnt(0)
	ds_write_b16 v6, v1 offset:512
	; wave barrier
	ds_read_u16 v2, v0 offset:8
	ds_read_b64 v[0:1], v0
	s_waitcnt lgkmcnt(1)
	global_store_short v4, v2, s[2:3] offset:8
	s_waitcnt lgkmcnt(0)
	global_store_dwordx2 v4, v[0:1], s[2:3]
	s_endpgm
	.section	.rodata,"a",@progbits
	.p2align	6, 0x0
	.amdhsa_kernel _Z20warp_exchange_kernelILj1024ELj5ELj64ELN6hipcub21WarpExchangeAlgorithmE0E18StripedToBlockedOp6__halfEvPT4_S5_
		.amdhsa_group_segment_fixed_size 10240
		.amdhsa_private_segment_fixed_size 0
		.amdhsa_kernarg_size 16
		.amdhsa_user_sgpr_count 6
		.amdhsa_user_sgpr_private_segment_buffer 1
		.amdhsa_user_sgpr_dispatch_ptr 0
		.amdhsa_user_sgpr_queue_ptr 0
		.amdhsa_user_sgpr_kernarg_segment_ptr 1
		.amdhsa_user_sgpr_dispatch_id 0
		.amdhsa_user_sgpr_flat_scratch_init 0
		.amdhsa_user_sgpr_kernarg_preload_length 0
		.amdhsa_user_sgpr_kernarg_preload_offset 0
		.amdhsa_user_sgpr_private_segment_size 0
		.amdhsa_uses_dynamic_stack 0
		.amdhsa_system_sgpr_private_segment_wavefront_offset 0
		.amdhsa_system_sgpr_workgroup_id_x 1
		.amdhsa_system_sgpr_workgroup_id_y 0
		.amdhsa_system_sgpr_workgroup_id_z 0
		.amdhsa_system_sgpr_workgroup_info 0
		.amdhsa_system_vgpr_workitem_id 0
		.amdhsa_next_free_vgpr 7
		.amdhsa_next_free_sgpr 6
		.amdhsa_accum_offset 8
		.amdhsa_reserve_vcc 0
		.amdhsa_reserve_flat_scratch 0
		.amdhsa_float_round_mode_32 0
		.amdhsa_float_round_mode_16_64 0
		.amdhsa_float_denorm_mode_32 3
		.amdhsa_float_denorm_mode_16_64 3
		.amdhsa_dx10_clamp 1
		.amdhsa_ieee_mode 1
		.amdhsa_fp16_overflow 0
		.amdhsa_tg_split 0
		.amdhsa_exception_fp_ieee_invalid_op 0
		.amdhsa_exception_fp_denorm_src 0
		.amdhsa_exception_fp_ieee_div_zero 0
		.amdhsa_exception_fp_ieee_overflow 0
		.amdhsa_exception_fp_ieee_underflow 0
		.amdhsa_exception_fp_ieee_inexact 0
		.amdhsa_exception_int_div_zero 0
	.end_amdhsa_kernel
	.section	.text._Z20warp_exchange_kernelILj1024ELj5ELj64ELN6hipcub21WarpExchangeAlgorithmE0E18StripedToBlockedOp6__halfEvPT4_S5_,"axG",@progbits,_Z20warp_exchange_kernelILj1024ELj5ELj64ELN6hipcub21WarpExchangeAlgorithmE0E18StripedToBlockedOp6__halfEvPT4_S5_,comdat
.Lfunc_end0:
	.size	_Z20warp_exchange_kernelILj1024ELj5ELj64ELN6hipcub21WarpExchangeAlgorithmE0E18StripedToBlockedOp6__halfEvPT4_S5_, .Lfunc_end0-_Z20warp_exchange_kernelILj1024ELj5ELj64ELN6hipcub21WarpExchangeAlgorithmE0E18StripedToBlockedOp6__halfEvPT4_S5_
                                        ; -- End function
	.section	.AMDGPU.csdata,"",@progbits
; Kernel info:
; codeLenInByte = 176
; NumSgprs: 10
; NumVgprs: 7
; NumAgprs: 0
; TotalNumVgprs: 7
; ScratchSize: 0
; MemoryBound: 0
; FloatMode: 240
; IeeeMode: 1
; LDSByteSize: 10240 bytes/workgroup (compile time only)
; SGPRBlocks: 1
; VGPRBlocks: 0
; NumSGPRsForWavesPerEU: 10
; NumVGPRsForWavesPerEU: 7
; AccumOffset: 8
; Occupancy: 8
; WaveLimiterHint : 0
; COMPUTE_PGM_RSRC2:SCRATCH_EN: 0
; COMPUTE_PGM_RSRC2:USER_SGPR: 6
; COMPUTE_PGM_RSRC2:TRAP_HANDLER: 0
; COMPUTE_PGM_RSRC2:TGID_X_EN: 1
; COMPUTE_PGM_RSRC2:TGID_Y_EN: 0
; COMPUTE_PGM_RSRC2:TGID_Z_EN: 0
; COMPUTE_PGM_RSRC2:TIDIG_COMP_CNT: 0
; COMPUTE_PGM_RSRC3_GFX90A:ACCUM_OFFSET: 1
; COMPUTE_PGM_RSRC3_GFX90A:TG_SPLIT: 0
	.section	.text._Z20warp_exchange_kernelILj1024ELj4ELj64ELN6hipcub21WarpExchangeAlgorithmE0E18StripedToBlockedOp6__halfEvPT4_S5_,"axG",@progbits,_Z20warp_exchange_kernelILj1024ELj4ELj64ELN6hipcub21WarpExchangeAlgorithmE0E18StripedToBlockedOp6__halfEvPT4_S5_,comdat
	.protected	_Z20warp_exchange_kernelILj1024ELj4ELj64ELN6hipcub21WarpExchangeAlgorithmE0E18StripedToBlockedOp6__halfEvPT4_S5_ ; -- Begin function _Z20warp_exchange_kernelILj1024ELj4ELj64ELN6hipcub21WarpExchangeAlgorithmE0E18StripedToBlockedOp6__halfEvPT4_S5_
	.globl	_Z20warp_exchange_kernelILj1024ELj4ELj64ELN6hipcub21WarpExchangeAlgorithmE0E18StripedToBlockedOp6__halfEvPT4_S5_
	.p2align	8
	.type	_Z20warp_exchange_kernelILj1024ELj4ELj64ELN6hipcub21WarpExchangeAlgorithmE0E18StripedToBlockedOp6__halfEvPT4_S5_,@function
_Z20warp_exchange_kernelILj1024ELj4ELj64ELN6hipcub21WarpExchangeAlgorithmE0E18StripedToBlockedOp6__halfEvPT4_S5_: ; @_Z20warp_exchange_kernelILj1024ELj4ELj64ELN6hipcub21WarpExchangeAlgorithmE0E18StripedToBlockedOp6__halfEvPT4_S5_
; %bb.0:
	s_load_dwordx4 s[0:3], s[4:5], 0x0
	v_lshlrev_b32_e32 v2, 3, v0
	v_mbcnt_lo_u32_b32 v3, -1, 0
	v_mbcnt_hi_u32_b32 v3, -1, v3
	v_and_b32_e32 v4, 0x1e00, v2
	s_waitcnt lgkmcnt(0)
	global_load_dwordx2 v[0:1], v2, s[0:1]
	v_lshl_or_b32 v5, v3, 1, v4
	v_lshl_add_u32 v3, v3, 3, v4
	s_waitcnt vmcnt(0)
	ds_write_b16 v5, v0
	ds_write_b16_d16_hi v5, v0 offset:128
	ds_write_b16 v5, v1 offset:256
	ds_write_b16_d16_hi v5, v1 offset:384
	; wave barrier
	ds_read_b64 v[0:1], v3
	s_waitcnt lgkmcnt(0)
	global_store_dwordx2 v2, v[0:1], s[2:3]
	s_endpgm
	.section	.rodata,"a",@progbits
	.p2align	6, 0x0
	.amdhsa_kernel _Z20warp_exchange_kernelILj1024ELj4ELj64ELN6hipcub21WarpExchangeAlgorithmE0E18StripedToBlockedOp6__halfEvPT4_S5_
		.amdhsa_group_segment_fixed_size 8192
		.amdhsa_private_segment_fixed_size 0
		.amdhsa_kernarg_size 16
		.amdhsa_user_sgpr_count 6
		.amdhsa_user_sgpr_private_segment_buffer 1
		.amdhsa_user_sgpr_dispatch_ptr 0
		.amdhsa_user_sgpr_queue_ptr 0
		.amdhsa_user_sgpr_kernarg_segment_ptr 1
		.amdhsa_user_sgpr_dispatch_id 0
		.amdhsa_user_sgpr_flat_scratch_init 0
		.amdhsa_user_sgpr_kernarg_preload_length 0
		.amdhsa_user_sgpr_kernarg_preload_offset 0
		.amdhsa_user_sgpr_private_segment_size 0
		.amdhsa_uses_dynamic_stack 0
		.amdhsa_system_sgpr_private_segment_wavefront_offset 0
		.amdhsa_system_sgpr_workgroup_id_x 1
		.amdhsa_system_sgpr_workgroup_id_y 0
		.amdhsa_system_sgpr_workgroup_id_z 0
		.amdhsa_system_sgpr_workgroup_info 0
		.amdhsa_system_vgpr_workitem_id 0
		.amdhsa_next_free_vgpr 6
		.amdhsa_next_free_sgpr 6
		.amdhsa_accum_offset 8
		.amdhsa_reserve_vcc 0
		.amdhsa_reserve_flat_scratch 0
		.amdhsa_float_round_mode_32 0
		.amdhsa_float_round_mode_16_64 0
		.amdhsa_float_denorm_mode_32 3
		.amdhsa_float_denorm_mode_16_64 3
		.amdhsa_dx10_clamp 1
		.amdhsa_ieee_mode 1
		.amdhsa_fp16_overflow 0
		.amdhsa_tg_split 0
		.amdhsa_exception_fp_ieee_invalid_op 0
		.amdhsa_exception_fp_denorm_src 0
		.amdhsa_exception_fp_ieee_div_zero 0
		.amdhsa_exception_fp_ieee_overflow 0
		.amdhsa_exception_fp_ieee_underflow 0
		.amdhsa_exception_fp_ieee_inexact 0
		.amdhsa_exception_int_div_zero 0
	.end_amdhsa_kernel
	.section	.text._Z20warp_exchange_kernelILj1024ELj4ELj64ELN6hipcub21WarpExchangeAlgorithmE0E18StripedToBlockedOp6__halfEvPT4_S5_,"axG",@progbits,_Z20warp_exchange_kernelILj1024ELj4ELj64ELN6hipcub21WarpExchangeAlgorithmE0E18StripedToBlockedOp6__halfEvPT4_S5_,comdat
.Lfunc_end1:
	.size	_Z20warp_exchange_kernelILj1024ELj4ELj64ELN6hipcub21WarpExchangeAlgorithmE0E18StripedToBlockedOp6__halfEvPT4_S5_, .Lfunc_end1-_Z20warp_exchange_kernelILj1024ELj4ELj64ELN6hipcub21WarpExchangeAlgorithmE0E18StripedToBlockedOp6__halfEvPT4_S5_
                                        ; -- End function
	.section	.AMDGPU.csdata,"",@progbits
; Kernel info:
; codeLenInByte = 124
; NumSgprs: 10
; NumVgprs: 6
; NumAgprs: 0
; TotalNumVgprs: 6
; ScratchSize: 0
; MemoryBound: 0
; FloatMode: 240
; IeeeMode: 1
; LDSByteSize: 8192 bytes/workgroup (compile time only)
; SGPRBlocks: 1
; VGPRBlocks: 0
; NumSGPRsForWavesPerEU: 10
; NumVGPRsForWavesPerEU: 6
; AccumOffset: 8
; Occupancy: 8
; WaveLimiterHint : 0
; COMPUTE_PGM_RSRC2:SCRATCH_EN: 0
; COMPUTE_PGM_RSRC2:USER_SGPR: 6
; COMPUTE_PGM_RSRC2:TRAP_HANDLER: 0
; COMPUTE_PGM_RSRC2:TGID_X_EN: 1
; COMPUTE_PGM_RSRC2:TGID_Y_EN: 0
; COMPUTE_PGM_RSRC2:TGID_Z_EN: 0
; COMPUTE_PGM_RSRC2:TIDIG_COMP_CNT: 0
; COMPUTE_PGM_RSRC3_GFX90A:ACCUM_OFFSET: 1
; COMPUTE_PGM_RSRC3_GFX90A:TG_SPLIT: 0
	.section	.text._Z20warp_exchange_kernelILj1024ELj1ELj64ELN6hipcub21WarpExchangeAlgorithmE0E18StripedToBlockedOp6__halfEvPT4_S5_,"axG",@progbits,_Z20warp_exchange_kernelILj1024ELj1ELj64ELN6hipcub21WarpExchangeAlgorithmE0E18StripedToBlockedOp6__halfEvPT4_S5_,comdat
	.protected	_Z20warp_exchange_kernelILj1024ELj1ELj64ELN6hipcub21WarpExchangeAlgorithmE0E18StripedToBlockedOp6__halfEvPT4_S5_ ; -- Begin function _Z20warp_exchange_kernelILj1024ELj1ELj64ELN6hipcub21WarpExchangeAlgorithmE0E18StripedToBlockedOp6__halfEvPT4_S5_
	.globl	_Z20warp_exchange_kernelILj1024ELj1ELj64ELN6hipcub21WarpExchangeAlgorithmE0E18StripedToBlockedOp6__halfEvPT4_S5_
	.p2align	8
	.type	_Z20warp_exchange_kernelILj1024ELj1ELj64ELN6hipcub21WarpExchangeAlgorithmE0E18StripedToBlockedOp6__halfEvPT4_S5_,@function
_Z20warp_exchange_kernelILj1024ELj1ELj64ELN6hipcub21WarpExchangeAlgorithmE0E18StripedToBlockedOp6__halfEvPT4_S5_: ; @_Z20warp_exchange_kernelILj1024ELj1ELj64ELN6hipcub21WarpExchangeAlgorithmE0E18StripedToBlockedOp6__halfEvPT4_S5_
; %bb.0:
	s_load_dwordx4 s[0:3], s[4:5], 0x0
	v_lshlrev_b32_e32 v0, 1, v0
	v_mbcnt_lo_u32_b32 v2, -1, 0
	v_mbcnt_hi_u32_b32 v2, -1, v2
	v_and_b32_e32 v3, 0x780, v0
	s_waitcnt lgkmcnt(0)
	global_load_ushort v1, v0, s[0:1]
	v_lshl_add_u32 v2, v2, 1, v3
	s_waitcnt vmcnt(0)
	ds_write_b16 v2, v1
	; wave barrier
	ds_read_u16 v1, v2
	s_waitcnt lgkmcnt(0)
	global_store_short v0, v1, s[2:3]
	s_endpgm
	.section	.rodata,"a",@progbits
	.p2align	6, 0x0
	.amdhsa_kernel _Z20warp_exchange_kernelILj1024ELj1ELj64ELN6hipcub21WarpExchangeAlgorithmE0E18StripedToBlockedOp6__halfEvPT4_S5_
		.amdhsa_group_segment_fixed_size 2048
		.amdhsa_private_segment_fixed_size 0
		.amdhsa_kernarg_size 16
		.amdhsa_user_sgpr_count 6
		.amdhsa_user_sgpr_private_segment_buffer 1
		.amdhsa_user_sgpr_dispatch_ptr 0
		.amdhsa_user_sgpr_queue_ptr 0
		.amdhsa_user_sgpr_kernarg_segment_ptr 1
		.amdhsa_user_sgpr_dispatch_id 0
		.amdhsa_user_sgpr_flat_scratch_init 0
		.amdhsa_user_sgpr_kernarg_preload_length 0
		.amdhsa_user_sgpr_kernarg_preload_offset 0
		.amdhsa_user_sgpr_private_segment_size 0
		.amdhsa_uses_dynamic_stack 0
		.amdhsa_system_sgpr_private_segment_wavefront_offset 0
		.amdhsa_system_sgpr_workgroup_id_x 1
		.amdhsa_system_sgpr_workgroup_id_y 0
		.amdhsa_system_sgpr_workgroup_id_z 0
		.amdhsa_system_sgpr_workgroup_info 0
		.amdhsa_system_vgpr_workitem_id 0
		.amdhsa_next_free_vgpr 4
		.amdhsa_next_free_sgpr 6
		.amdhsa_accum_offset 4
		.amdhsa_reserve_vcc 0
		.amdhsa_reserve_flat_scratch 0
		.amdhsa_float_round_mode_32 0
		.amdhsa_float_round_mode_16_64 0
		.amdhsa_float_denorm_mode_32 3
		.amdhsa_float_denorm_mode_16_64 3
		.amdhsa_dx10_clamp 1
		.amdhsa_ieee_mode 1
		.amdhsa_fp16_overflow 0
		.amdhsa_tg_split 0
		.amdhsa_exception_fp_ieee_invalid_op 0
		.amdhsa_exception_fp_denorm_src 0
		.amdhsa_exception_fp_ieee_div_zero 0
		.amdhsa_exception_fp_ieee_overflow 0
		.amdhsa_exception_fp_ieee_underflow 0
		.amdhsa_exception_fp_ieee_inexact 0
		.amdhsa_exception_int_div_zero 0
	.end_amdhsa_kernel
	.section	.text._Z20warp_exchange_kernelILj1024ELj1ELj64ELN6hipcub21WarpExchangeAlgorithmE0E18StripedToBlockedOp6__halfEvPT4_S5_,"axG",@progbits,_Z20warp_exchange_kernelILj1024ELj1ELj64ELN6hipcub21WarpExchangeAlgorithmE0E18StripedToBlockedOp6__halfEvPT4_S5_,comdat
.Lfunc_end2:
	.size	_Z20warp_exchange_kernelILj1024ELj1ELj64ELN6hipcub21WarpExchangeAlgorithmE0E18StripedToBlockedOp6__halfEvPT4_S5_, .Lfunc_end2-_Z20warp_exchange_kernelILj1024ELj1ELj64ELN6hipcub21WarpExchangeAlgorithmE0E18StripedToBlockedOp6__halfEvPT4_S5_
                                        ; -- End function
	.section	.AMDGPU.csdata,"",@progbits
; Kernel info:
; codeLenInByte = 92
; NumSgprs: 10
; NumVgprs: 4
; NumAgprs: 0
; TotalNumVgprs: 4
; ScratchSize: 0
; MemoryBound: 0
; FloatMode: 240
; IeeeMode: 1
; LDSByteSize: 2048 bytes/workgroup (compile time only)
; SGPRBlocks: 1
; VGPRBlocks: 0
; NumSGPRsForWavesPerEU: 10
; NumVGPRsForWavesPerEU: 4
; AccumOffset: 4
; Occupancy: 8
; WaveLimiterHint : 0
; COMPUTE_PGM_RSRC2:SCRATCH_EN: 0
; COMPUTE_PGM_RSRC2:USER_SGPR: 6
; COMPUTE_PGM_RSRC2:TRAP_HANDLER: 0
; COMPUTE_PGM_RSRC2:TGID_X_EN: 1
; COMPUTE_PGM_RSRC2:TGID_Y_EN: 0
; COMPUTE_PGM_RSRC2:TGID_Z_EN: 0
; COMPUTE_PGM_RSRC2:TIDIG_COMP_CNT: 0
; COMPUTE_PGM_RSRC3_GFX90A:ACCUM_OFFSET: 0
; COMPUTE_PGM_RSRC3_GFX90A:TG_SPLIT: 0
	.section	.text._Z20warp_exchange_kernelILj1024ELj5ELj32ELN6hipcub21WarpExchangeAlgorithmE0E18StripedToBlockedOp6__halfEvPT4_S5_,"axG",@progbits,_Z20warp_exchange_kernelILj1024ELj5ELj32ELN6hipcub21WarpExchangeAlgorithmE0E18StripedToBlockedOp6__halfEvPT4_S5_,comdat
	.protected	_Z20warp_exchange_kernelILj1024ELj5ELj32ELN6hipcub21WarpExchangeAlgorithmE0E18StripedToBlockedOp6__halfEvPT4_S5_ ; -- Begin function _Z20warp_exchange_kernelILj1024ELj5ELj32ELN6hipcub21WarpExchangeAlgorithmE0E18StripedToBlockedOp6__halfEvPT4_S5_
	.globl	_Z20warp_exchange_kernelILj1024ELj5ELj32ELN6hipcub21WarpExchangeAlgorithmE0E18StripedToBlockedOp6__halfEvPT4_S5_
	.p2align	8
	.type	_Z20warp_exchange_kernelILj1024ELj5ELj32ELN6hipcub21WarpExchangeAlgorithmE0E18StripedToBlockedOp6__halfEvPT4_S5_,@function
_Z20warp_exchange_kernelILj1024ELj5ELj32ELN6hipcub21WarpExchangeAlgorithmE0E18StripedToBlockedOp6__halfEvPT4_S5_: ; @_Z20warp_exchange_kernelILj1024ELj5ELj32ELN6hipcub21WarpExchangeAlgorithmE0E18StripedToBlockedOp6__halfEvPT4_S5_
; %bb.0:
	s_load_dwordx4 s[0:3], s[4:5], 0x0
	v_mul_u32_u24_e32 v1, 5, v0
	v_lshlrev_b32_e32 v4, 1, v1
	v_mbcnt_lo_u32_b32 v5, -1, 0
	v_lshrrev_b32_e32 v0, 5, v0
	s_waitcnt lgkmcnt(0)
	global_load_dwordx2 v[2:3], v4, s[0:1]
	global_load_ushort v1, v4, s[0:1] offset:8
	v_mbcnt_hi_u32_b32 v5, -1, v5
	v_mul_u32_u24_e32 v0, 0x140, v0
	v_and_b32_e32 v5, 31, v5
	v_lshl_or_b32 v0, v5, 1, v0
	v_lshl_add_u32 v5, v5, 3, v0
	s_waitcnt vmcnt(1)
	ds_write_b16 v0, v2
	ds_write_b16_d16_hi v0, v2 offset:64
	ds_write_b16 v0, v3 offset:128
	ds_write_b16_d16_hi v0, v3 offset:192
	s_waitcnt vmcnt(0)
	ds_write_b16 v0, v1 offset:256
	; wave barrier
	ds_read_u16 v2, v5 offset:8
	ds_read_b64 v[0:1], v5
	s_waitcnt lgkmcnt(1)
	global_store_short v4, v2, s[2:3] offset:8
	s_waitcnt lgkmcnt(0)
	global_store_dwordx2 v4, v[0:1], s[2:3]
	s_endpgm
	.section	.rodata,"a",@progbits
	.p2align	6, 0x0
	.amdhsa_kernel _Z20warp_exchange_kernelILj1024ELj5ELj32ELN6hipcub21WarpExchangeAlgorithmE0E18StripedToBlockedOp6__halfEvPT4_S5_
		.amdhsa_group_segment_fixed_size 10240
		.amdhsa_private_segment_fixed_size 0
		.amdhsa_kernarg_size 16
		.amdhsa_user_sgpr_count 6
		.amdhsa_user_sgpr_private_segment_buffer 1
		.amdhsa_user_sgpr_dispatch_ptr 0
		.amdhsa_user_sgpr_queue_ptr 0
		.amdhsa_user_sgpr_kernarg_segment_ptr 1
		.amdhsa_user_sgpr_dispatch_id 0
		.amdhsa_user_sgpr_flat_scratch_init 0
		.amdhsa_user_sgpr_kernarg_preload_length 0
		.amdhsa_user_sgpr_kernarg_preload_offset 0
		.amdhsa_user_sgpr_private_segment_size 0
		.amdhsa_uses_dynamic_stack 0
		.amdhsa_system_sgpr_private_segment_wavefront_offset 0
		.amdhsa_system_sgpr_workgroup_id_x 1
		.amdhsa_system_sgpr_workgroup_id_y 0
		.amdhsa_system_sgpr_workgroup_id_z 0
		.amdhsa_system_sgpr_workgroup_info 0
		.amdhsa_system_vgpr_workitem_id 0
		.amdhsa_next_free_vgpr 6
		.amdhsa_next_free_sgpr 6
		.amdhsa_accum_offset 8
		.amdhsa_reserve_vcc 0
		.amdhsa_reserve_flat_scratch 0
		.amdhsa_float_round_mode_32 0
		.amdhsa_float_round_mode_16_64 0
		.amdhsa_float_denorm_mode_32 3
		.amdhsa_float_denorm_mode_16_64 3
		.amdhsa_dx10_clamp 1
		.amdhsa_ieee_mode 1
		.amdhsa_fp16_overflow 0
		.amdhsa_tg_split 0
		.amdhsa_exception_fp_ieee_invalid_op 0
		.amdhsa_exception_fp_denorm_src 0
		.amdhsa_exception_fp_ieee_div_zero 0
		.amdhsa_exception_fp_ieee_overflow 0
		.amdhsa_exception_fp_ieee_underflow 0
		.amdhsa_exception_fp_ieee_inexact 0
		.amdhsa_exception_int_div_zero 0
	.end_amdhsa_kernel
	.section	.text._Z20warp_exchange_kernelILj1024ELj5ELj32ELN6hipcub21WarpExchangeAlgorithmE0E18StripedToBlockedOp6__halfEvPT4_S5_,"axG",@progbits,_Z20warp_exchange_kernelILj1024ELj5ELj32ELN6hipcub21WarpExchangeAlgorithmE0E18StripedToBlockedOp6__halfEvPT4_S5_,comdat
.Lfunc_end3:
	.size	_Z20warp_exchange_kernelILj1024ELj5ELj32ELN6hipcub21WarpExchangeAlgorithmE0E18StripedToBlockedOp6__halfEvPT4_S5_, .Lfunc_end3-_Z20warp_exchange_kernelILj1024ELj5ELj32ELN6hipcub21WarpExchangeAlgorithmE0E18StripedToBlockedOp6__halfEvPT4_S5_
                                        ; -- End function
	.section	.AMDGPU.csdata,"",@progbits
; Kernel info:
; codeLenInByte = 176
; NumSgprs: 10
; NumVgprs: 6
; NumAgprs: 0
; TotalNumVgprs: 6
; ScratchSize: 0
; MemoryBound: 0
; FloatMode: 240
; IeeeMode: 1
; LDSByteSize: 10240 bytes/workgroup (compile time only)
; SGPRBlocks: 1
; VGPRBlocks: 0
; NumSGPRsForWavesPerEU: 10
; NumVGPRsForWavesPerEU: 6
; AccumOffset: 8
; Occupancy: 8
; WaveLimiterHint : 0
; COMPUTE_PGM_RSRC2:SCRATCH_EN: 0
; COMPUTE_PGM_RSRC2:USER_SGPR: 6
; COMPUTE_PGM_RSRC2:TRAP_HANDLER: 0
; COMPUTE_PGM_RSRC2:TGID_X_EN: 1
; COMPUTE_PGM_RSRC2:TGID_Y_EN: 0
; COMPUTE_PGM_RSRC2:TGID_Z_EN: 0
; COMPUTE_PGM_RSRC2:TIDIG_COMP_CNT: 0
; COMPUTE_PGM_RSRC3_GFX90A:ACCUM_OFFSET: 1
; COMPUTE_PGM_RSRC3_GFX90A:TG_SPLIT: 0
	.section	.text._Z20warp_exchange_kernelILj1024ELj4ELj32ELN6hipcub21WarpExchangeAlgorithmE0E18StripedToBlockedOp6__halfEvPT4_S5_,"axG",@progbits,_Z20warp_exchange_kernelILj1024ELj4ELj32ELN6hipcub21WarpExchangeAlgorithmE0E18StripedToBlockedOp6__halfEvPT4_S5_,comdat
	.protected	_Z20warp_exchange_kernelILj1024ELj4ELj32ELN6hipcub21WarpExchangeAlgorithmE0E18StripedToBlockedOp6__halfEvPT4_S5_ ; -- Begin function _Z20warp_exchange_kernelILj1024ELj4ELj32ELN6hipcub21WarpExchangeAlgorithmE0E18StripedToBlockedOp6__halfEvPT4_S5_
	.globl	_Z20warp_exchange_kernelILj1024ELj4ELj32ELN6hipcub21WarpExchangeAlgorithmE0E18StripedToBlockedOp6__halfEvPT4_S5_
	.p2align	8
	.type	_Z20warp_exchange_kernelILj1024ELj4ELj32ELN6hipcub21WarpExchangeAlgorithmE0E18StripedToBlockedOp6__halfEvPT4_S5_,@function
_Z20warp_exchange_kernelILj1024ELj4ELj32ELN6hipcub21WarpExchangeAlgorithmE0E18StripedToBlockedOp6__halfEvPT4_S5_: ; @_Z20warp_exchange_kernelILj1024ELj4ELj32ELN6hipcub21WarpExchangeAlgorithmE0E18StripedToBlockedOp6__halfEvPT4_S5_
; %bb.0:
	s_load_dwordx4 s[0:3], s[4:5], 0x0
	v_lshlrev_b32_e32 v2, 3, v0
	v_mbcnt_lo_u32_b32 v3, -1, 0
	v_mbcnt_hi_u32_b32 v3, -1, v3
	v_and_b32_e32 v3, 31, v3
	s_waitcnt lgkmcnt(0)
	global_load_dwordx2 v[0:1], v2, s[0:1]
	s_movk_i32 s0, 0x1f00
	v_lshlrev_b32_e32 v4, 1, v3
	v_and_or_b32 v4, v2, s0, v4
	v_mad_u32_u24 v3, v3, 6, v4
	s_waitcnt vmcnt(0)
	ds_write_b16 v4, v0
	ds_write_b16_d16_hi v4, v0 offset:64
	ds_write_b16 v4, v1 offset:128
	ds_write_b16_d16_hi v4, v1 offset:192
	; wave barrier
	ds_read_b64 v[0:1], v3
	s_waitcnt lgkmcnt(0)
	global_store_dwordx2 v2, v[0:1], s[2:3]
	s_endpgm
	.section	.rodata,"a",@progbits
	.p2align	6, 0x0
	.amdhsa_kernel _Z20warp_exchange_kernelILj1024ELj4ELj32ELN6hipcub21WarpExchangeAlgorithmE0E18StripedToBlockedOp6__halfEvPT4_S5_
		.amdhsa_group_segment_fixed_size 8192
		.amdhsa_private_segment_fixed_size 0
		.amdhsa_kernarg_size 16
		.amdhsa_user_sgpr_count 6
		.amdhsa_user_sgpr_private_segment_buffer 1
		.amdhsa_user_sgpr_dispatch_ptr 0
		.amdhsa_user_sgpr_queue_ptr 0
		.amdhsa_user_sgpr_kernarg_segment_ptr 1
		.amdhsa_user_sgpr_dispatch_id 0
		.amdhsa_user_sgpr_flat_scratch_init 0
		.amdhsa_user_sgpr_kernarg_preload_length 0
		.amdhsa_user_sgpr_kernarg_preload_offset 0
		.amdhsa_user_sgpr_private_segment_size 0
		.amdhsa_uses_dynamic_stack 0
		.amdhsa_system_sgpr_private_segment_wavefront_offset 0
		.amdhsa_system_sgpr_workgroup_id_x 1
		.amdhsa_system_sgpr_workgroup_id_y 0
		.amdhsa_system_sgpr_workgroup_id_z 0
		.amdhsa_system_sgpr_workgroup_info 0
		.amdhsa_system_vgpr_workitem_id 0
		.amdhsa_next_free_vgpr 5
		.amdhsa_next_free_sgpr 6
		.amdhsa_accum_offset 8
		.amdhsa_reserve_vcc 0
		.amdhsa_reserve_flat_scratch 0
		.amdhsa_float_round_mode_32 0
		.amdhsa_float_round_mode_16_64 0
		.amdhsa_float_denorm_mode_32 3
		.amdhsa_float_denorm_mode_16_64 3
		.amdhsa_dx10_clamp 1
		.amdhsa_ieee_mode 1
		.amdhsa_fp16_overflow 0
		.amdhsa_tg_split 0
		.amdhsa_exception_fp_ieee_invalid_op 0
		.amdhsa_exception_fp_denorm_src 0
		.amdhsa_exception_fp_ieee_div_zero 0
		.amdhsa_exception_fp_ieee_overflow 0
		.amdhsa_exception_fp_ieee_underflow 0
		.amdhsa_exception_fp_ieee_inexact 0
		.amdhsa_exception_int_div_zero 0
	.end_amdhsa_kernel
	.section	.text._Z20warp_exchange_kernelILj1024ELj4ELj32ELN6hipcub21WarpExchangeAlgorithmE0E18StripedToBlockedOp6__halfEvPT4_S5_,"axG",@progbits,_Z20warp_exchange_kernelILj1024ELj4ELj32ELN6hipcub21WarpExchangeAlgorithmE0E18StripedToBlockedOp6__halfEvPT4_S5_,comdat
.Lfunc_end4:
	.size	_Z20warp_exchange_kernelILj1024ELj4ELj32ELN6hipcub21WarpExchangeAlgorithmE0E18StripedToBlockedOp6__halfEvPT4_S5_, .Lfunc_end4-_Z20warp_exchange_kernelILj1024ELj4ELj32ELN6hipcub21WarpExchangeAlgorithmE0E18StripedToBlockedOp6__halfEvPT4_S5_
                                        ; -- End function
	.section	.AMDGPU.csdata,"",@progbits
; Kernel info:
; codeLenInByte = 128
; NumSgprs: 10
; NumVgprs: 5
; NumAgprs: 0
; TotalNumVgprs: 5
; ScratchSize: 0
; MemoryBound: 0
; FloatMode: 240
; IeeeMode: 1
; LDSByteSize: 8192 bytes/workgroup (compile time only)
; SGPRBlocks: 1
; VGPRBlocks: 0
; NumSGPRsForWavesPerEU: 10
; NumVGPRsForWavesPerEU: 5
; AccumOffset: 8
; Occupancy: 8
; WaveLimiterHint : 0
; COMPUTE_PGM_RSRC2:SCRATCH_EN: 0
; COMPUTE_PGM_RSRC2:USER_SGPR: 6
; COMPUTE_PGM_RSRC2:TRAP_HANDLER: 0
; COMPUTE_PGM_RSRC2:TGID_X_EN: 1
; COMPUTE_PGM_RSRC2:TGID_Y_EN: 0
; COMPUTE_PGM_RSRC2:TGID_Z_EN: 0
; COMPUTE_PGM_RSRC2:TIDIG_COMP_CNT: 0
; COMPUTE_PGM_RSRC3_GFX90A:ACCUM_OFFSET: 1
; COMPUTE_PGM_RSRC3_GFX90A:TG_SPLIT: 0
	.section	.text._Z20warp_exchange_kernelILj1024ELj1ELj32ELN6hipcub21WarpExchangeAlgorithmE0E18StripedToBlockedOp6__halfEvPT4_S5_,"axG",@progbits,_Z20warp_exchange_kernelILj1024ELj1ELj32ELN6hipcub21WarpExchangeAlgorithmE0E18StripedToBlockedOp6__halfEvPT4_S5_,comdat
	.protected	_Z20warp_exchange_kernelILj1024ELj1ELj32ELN6hipcub21WarpExchangeAlgorithmE0E18StripedToBlockedOp6__halfEvPT4_S5_ ; -- Begin function _Z20warp_exchange_kernelILj1024ELj1ELj32ELN6hipcub21WarpExchangeAlgorithmE0E18StripedToBlockedOp6__halfEvPT4_S5_
	.globl	_Z20warp_exchange_kernelILj1024ELj1ELj32ELN6hipcub21WarpExchangeAlgorithmE0E18StripedToBlockedOp6__halfEvPT4_S5_
	.p2align	8
	.type	_Z20warp_exchange_kernelILj1024ELj1ELj32ELN6hipcub21WarpExchangeAlgorithmE0E18StripedToBlockedOp6__halfEvPT4_S5_,@function
_Z20warp_exchange_kernelILj1024ELj1ELj32ELN6hipcub21WarpExchangeAlgorithmE0E18StripedToBlockedOp6__halfEvPT4_S5_: ; @_Z20warp_exchange_kernelILj1024ELj1ELj32ELN6hipcub21WarpExchangeAlgorithmE0E18StripedToBlockedOp6__halfEvPT4_S5_
; %bb.0:
	s_load_dwordx4 s[0:3], s[4:5], 0x0
	v_lshlrev_b32_e32 v0, 1, v0
	v_mbcnt_lo_u32_b32 v2, -1, 0
	v_mbcnt_hi_u32_b32 v2, -1, v2
	v_and_b32_e32 v2, 31, v2
	s_waitcnt lgkmcnt(0)
	global_load_ushort v1, v0, s[0:1]
	s_movk_i32 s0, 0x7c0
	v_lshlrev_b32_e32 v2, 1, v2
	v_and_or_b32 v2, v0, s0, v2
	s_waitcnt vmcnt(0)
	ds_write_b16 v2, v1
	; wave barrier
	ds_read_u16 v1, v2
	s_waitcnt lgkmcnt(0)
	global_store_short v0, v1, s[2:3]
	s_endpgm
	.section	.rodata,"a",@progbits
	.p2align	6, 0x0
	.amdhsa_kernel _Z20warp_exchange_kernelILj1024ELj1ELj32ELN6hipcub21WarpExchangeAlgorithmE0E18StripedToBlockedOp6__halfEvPT4_S5_
		.amdhsa_group_segment_fixed_size 2048
		.amdhsa_private_segment_fixed_size 0
		.amdhsa_kernarg_size 16
		.amdhsa_user_sgpr_count 6
		.amdhsa_user_sgpr_private_segment_buffer 1
		.amdhsa_user_sgpr_dispatch_ptr 0
		.amdhsa_user_sgpr_queue_ptr 0
		.amdhsa_user_sgpr_kernarg_segment_ptr 1
		.amdhsa_user_sgpr_dispatch_id 0
		.amdhsa_user_sgpr_flat_scratch_init 0
		.amdhsa_user_sgpr_kernarg_preload_length 0
		.amdhsa_user_sgpr_kernarg_preload_offset 0
		.amdhsa_user_sgpr_private_segment_size 0
		.amdhsa_uses_dynamic_stack 0
		.amdhsa_system_sgpr_private_segment_wavefront_offset 0
		.amdhsa_system_sgpr_workgroup_id_x 1
		.amdhsa_system_sgpr_workgroup_id_y 0
		.amdhsa_system_sgpr_workgroup_id_z 0
		.amdhsa_system_sgpr_workgroup_info 0
		.amdhsa_system_vgpr_workitem_id 0
		.amdhsa_next_free_vgpr 3
		.amdhsa_next_free_sgpr 6
		.amdhsa_accum_offset 4
		.amdhsa_reserve_vcc 0
		.amdhsa_reserve_flat_scratch 0
		.amdhsa_float_round_mode_32 0
		.amdhsa_float_round_mode_16_64 0
		.amdhsa_float_denorm_mode_32 3
		.amdhsa_float_denorm_mode_16_64 3
		.amdhsa_dx10_clamp 1
		.amdhsa_ieee_mode 1
		.amdhsa_fp16_overflow 0
		.amdhsa_tg_split 0
		.amdhsa_exception_fp_ieee_invalid_op 0
		.amdhsa_exception_fp_denorm_src 0
		.amdhsa_exception_fp_ieee_div_zero 0
		.amdhsa_exception_fp_ieee_overflow 0
		.amdhsa_exception_fp_ieee_underflow 0
		.amdhsa_exception_fp_ieee_inexact 0
		.amdhsa_exception_int_div_zero 0
	.end_amdhsa_kernel
	.section	.text._Z20warp_exchange_kernelILj1024ELj1ELj32ELN6hipcub21WarpExchangeAlgorithmE0E18StripedToBlockedOp6__halfEvPT4_S5_,"axG",@progbits,_Z20warp_exchange_kernelILj1024ELj1ELj32ELN6hipcub21WarpExchangeAlgorithmE0E18StripedToBlockedOp6__halfEvPT4_S5_,comdat
.Lfunc_end5:
	.size	_Z20warp_exchange_kernelILj1024ELj1ELj32ELN6hipcub21WarpExchangeAlgorithmE0E18StripedToBlockedOp6__halfEvPT4_S5_, .Lfunc_end5-_Z20warp_exchange_kernelILj1024ELj1ELj32ELN6hipcub21WarpExchangeAlgorithmE0E18StripedToBlockedOp6__halfEvPT4_S5_
                                        ; -- End function
	.section	.AMDGPU.csdata,"",@progbits
; Kernel info:
; codeLenInByte = 96
; NumSgprs: 10
; NumVgprs: 3
; NumAgprs: 0
; TotalNumVgprs: 3
; ScratchSize: 0
; MemoryBound: 0
; FloatMode: 240
; IeeeMode: 1
; LDSByteSize: 2048 bytes/workgroup (compile time only)
; SGPRBlocks: 1
; VGPRBlocks: 0
; NumSGPRsForWavesPerEU: 10
; NumVGPRsForWavesPerEU: 3
; AccumOffset: 4
; Occupancy: 8
; WaveLimiterHint : 0
; COMPUTE_PGM_RSRC2:SCRATCH_EN: 0
; COMPUTE_PGM_RSRC2:USER_SGPR: 6
; COMPUTE_PGM_RSRC2:TRAP_HANDLER: 0
; COMPUTE_PGM_RSRC2:TGID_X_EN: 1
; COMPUTE_PGM_RSRC2:TGID_Y_EN: 0
; COMPUTE_PGM_RSRC2:TGID_Z_EN: 0
; COMPUTE_PGM_RSRC2:TIDIG_COMP_CNT: 0
; COMPUTE_PGM_RSRC3_GFX90A:ACCUM_OFFSET: 0
; COMPUTE_PGM_RSRC3_GFX90A:TG_SPLIT: 0
	.section	.text._Z20warp_exchange_kernelILj1024ELj5ELj16ELN6hipcub21WarpExchangeAlgorithmE0E18StripedToBlockedOp6__halfEvPT4_S5_,"axG",@progbits,_Z20warp_exchange_kernelILj1024ELj5ELj16ELN6hipcub21WarpExchangeAlgorithmE0E18StripedToBlockedOp6__halfEvPT4_S5_,comdat
	.protected	_Z20warp_exchange_kernelILj1024ELj5ELj16ELN6hipcub21WarpExchangeAlgorithmE0E18StripedToBlockedOp6__halfEvPT4_S5_ ; -- Begin function _Z20warp_exchange_kernelILj1024ELj5ELj16ELN6hipcub21WarpExchangeAlgorithmE0E18StripedToBlockedOp6__halfEvPT4_S5_
	.globl	_Z20warp_exchange_kernelILj1024ELj5ELj16ELN6hipcub21WarpExchangeAlgorithmE0E18StripedToBlockedOp6__halfEvPT4_S5_
	.p2align	8
	.type	_Z20warp_exchange_kernelILj1024ELj5ELj16ELN6hipcub21WarpExchangeAlgorithmE0E18StripedToBlockedOp6__halfEvPT4_S5_,@function
_Z20warp_exchange_kernelILj1024ELj5ELj16ELN6hipcub21WarpExchangeAlgorithmE0E18StripedToBlockedOp6__halfEvPT4_S5_: ; @_Z20warp_exchange_kernelILj1024ELj5ELj16ELN6hipcub21WarpExchangeAlgorithmE0E18StripedToBlockedOp6__halfEvPT4_S5_
; %bb.0:
	s_load_dwordx4 s[0:3], s[4:5], 0x0
	v_mul_u32_u24_e32 v1, 5, v0
	v_lshlrev_b32_e32 v4, 1, v1
	v_mbcnt_lo_u32_b32 v5, -1, 0
	v_lshrrev_b32_e32 v0, 4, v0
	s_waitcnt lgkmcnt(0)
	global_load_dwordx2 v[2:3], v4, s[0:1]
	global_load_ushort v1, v4, s[0:1] offset:8
	v_mbcnt_hi_u32_b32 v5, -1, v5
	v_mul_u32_u24_e32 v0, 0xa0, v0
	v_and_b32_e32 v5, 15, v5
	v_lshl_or_b32 v0, v5, 1, v0
	v_lshl_add_u32 v5, v5, 3, v0
	s_waitcnt vmcnt(1)
	ds_write_b16 v0, v2
	ds_write_b16_d16_hi v0, v2 offset:32
	ds_write_b16 v0, v3 offset:64
	ds_write_b16_d16_hi v0, v3 offset:96
	s_waitcnt vmcnt(0)
	ds_write_b16 v0, v1 offset:128
	; wave barrier
	ds_read_u16 v2, v5 offset:8
	ds_read_b64 v[0:1], v5
	s_waitcnt lgkmcnt(1)
	global_store_short v4, v2, s[2:3] offset:8
	s_waitcnt lgkmcnt(0)
	global_store_dwordx2 v4, v[0:1], s[2:3]
	s_endpgm
	.section	.rodata,"a",@progbits
	.p2align	6, 0x0
	.amdhsa_kernel _Z20warp_exchange_kernelILj1024ELj5ELj16ELN6hipcub21WarpExchangeAlgorithmE0E18StripedToBlockedOp6__halfEvPT4_S5_
		.amdhsa_group_segment_fixed_size 10240
		.amdhsa_private_segment_fixed_size 0
		.amdhsa_kernarg_size 16
		.amdhsa_user_sgpr_count 6
		.amdhsa_user_sgpr_private_segment_buffer 1
		.amdhsa_user_sgpr_dispatch_ptr 0
		.amdhsa_user_sgpr_queue_ptr 0
		.amdhsa_user_sgpr_kernarg_segment_ptr 1
		.amdhsa_user_sgpr_dispatch_id 0
		.amdhsa_user_sgpr_flat_scratch_init 0
		.amdhsa_user_sgpr_kernarg_preload_length 0
		.amdhsa_user_sgpr_kernarg_preload_offset 0
		.amdhsa_user_sgpr_private_segment_size 0
		.amdhsa_uses_dynamic_stack 0
		.amdhsa_system_sgpr_private_segment_wavefront_offset 0
		.amdhsa_system_sgpr_workgroup_id_x 1
		.amdhsa_system_sgpr_workgroup_id_y 0
		.amdhsa_system_sgpr_workgroup_id_z 0
		.amdhsa_system_sgpr_workgroup_info 0
		.amdhsa_system_vgpr_workitem_id 0
		.amdhsa_next_free_vgpr 6
		.amdhsa_next_free_sgpr 6
		.amdhsa_accum_offset 8
		.amdhsa_reserve_vcc 0
		.amdhsa_reserve_flat_scratch 0
		.amdhsa_float_round_mode_32 0
		.amdhsa_float_round_mode_16_64 0
		.amdhsa_float_denorm_mode_32 3
		.amdhsa_float_denorm_mode_16_64 3
		.amdhsa_dx10_clamp 1
		.amdhsa_ieee_mode 1
		.amdhsa_fp16_overflow 0
		.amdhsa_tg_split 0
		.amdhsa_exception_fp_ieee_invalid_op 0
		.amdhsa_exception_fp_denorm_src 0
		.amdhsa_exception_fp_ieee_div_zero 0
		.amdhsa_exception_fp_ieee_overflow 0
		.amdhsa_exception_fp_ieee_underflow 0
		.amdhsa_exception_fp_ieee_inexact 0
		.amdhsa_exception_int_div_zero 0
	.end_amdhsa_kernel
	.section	.text._Z20warp_exchange_kernelILj1024ELj5ELj16ELN6hipcub21WarpExchangeAlgorithmE0E18StripedToBlockedOp6__halfEvPT4_S5_,"axG",@progbits,_Z20warp_exchange_kernelILj1024ELj5ELj16ELN6hipcub21WarpExchangeAlgorithmE0E18StripedToBlockedOp6__halfEvPT4_S5_,comdat
.Lfunc_end6:
	.size	_Z20warp_exchange_kernelILj1024ELj5ELj16ELN6hipcub21WarpExchangeAlgorithmE0E18StripedToBlockedOp6__halfEvPT4_S5_, .Lfunc_end6-_Z20warp_exchange_kernelILj1024ELj5ELj16ELN6hipcub21WarpExchangeAlgorithmE0E18StripedToBlockedOp6__halfEvPT4_S5_
                                        ; -- End function
	.section	.AMDGPU.csdata,"",@progbits
; Kernel info:
; codeLenInByte = 176
; NumSgprs: 10
; NumVgprs: 6
; NumAgprs: 0
; TotalNumVgprs: 6
; ScratchSize: 0
; MemoryBound: 0
; FloatMode: 240
; IeeeMode: 1
; LDSByteSize: 10240 bytes/workgroup (compile time only)
; SGPRBlocks: 1
; VGPRBlocks: 0
; NumSGPRsForWavesPerEU: 10
; NumVGPRsForWavesPerEU: 6
; AccumOffset: 8
; Occupancy: 8
; WaveLimiterHint : 0
; COMPUTE_PGM_RSRC2:SCRATCH_EN: 0
; COMPUTE_PGM_RSRC2:USER_SGPR: 6
; COMPUTE_PGM_RSRC2:TRAP_HANDLER: 0
; COMPUTE_PGM_RSRC2:TGID_X_EN: 1
; COMPUTE_PGM_RSRC2:TGID_Y_EN: 0
; COMPUTE_PGM_RSRC2:TGID_Z_EN: 0
; COMPUTE_PGM_RSRC2:TIDIG_COMP_CNT: 0
; COMPUTE_PGM_RSRC3_GFX90A:ACCUM_OFFSET: 1
; COMPUTE_PGM_RSRC3_GFX90A:TG_SPLIT: 0
	.section	.text._Z20warp_exchange_kernelILj1024ELj4ELj16ELN6hipcub21WarpExchangeAlgorithmE0E18StripedToBlockedOp6__halfEvPT4_S5_,"axG",@progbits,_Z20warp_exchange_kernelILj1024ELj4ELj16ELN6hipcub21WarpExchangeAlgorithmE0E18StripedToBlockedOp6__halfEvPT4_S5_,comdat
	.protected	_Z20warp_exchange_kernelILj1024ELj4ELj16ELN6hipcub21WarpExchangeAlgorithmE0E18StripedToBlockedOp6__halfEvPT4_S5_ ; -- Begin function _Z20warp_exchange_kernelILj1024ELj4ELj16ELN6hipcub21WarpExchangeAlgorithmE0E18StripedToBlockedOp6__halfEvPT4_S5_
	.globl	_Z20warp_exchange_kernelILj1024ELj4ELj16ELN6hipcub21WarpExchangeAlgorithmE0E18StripedToBlockedOp6__halfEvPT4_S5_
	.p2align	8
	.type	_Z20warp_exchange_kernelILj1024ELj4ELj16ELN6hipcub21WarpExchangeAlgorithmE0E18StripedToBlockedOp6__halfEvPT4_S5_,@function
_Z20warp_exchange_kernelILj1024ELj4ELj16ELN6hipcub21WarpExchangeAlgorithmE0E18StripedToBlockedOp6__halfEvPT4_S5_: ; @_Z20warp_exchange_kernelILj1024ELj4ELj16ELN6hipcub21WarpExchangeAlgorithmE0E18StripedToBlockedOp6__halfEvPT4_S5_
; %bb.0:
	s_load_dwordx4 s[0:3], s[4:5], 0x0
	v_lshlrev_b32_e32 v2, 3, v0
	v_mbcnt_lo_u32_b32 v3, -1, 0
	v_mbcnt_hi_u32_b32 v3, -1, v3
	v_and_b32_e32 v3, 15, v3
	s_waitcnt lgkmcnt(0)
	global_load_dwordx2 v[0:1], v2, s[0:1]
	s_movk_i32 s0, 0x1f80
	v_lshlrev_b32_e32 v4, 1, v3
	v_and_or_b32 v4, v2, s0, v4
	v_mad_u32_u24 v3, v3, 6, v4
	s_waitcnt vmcnt(0)
	ds_write_b16 v4, v0
	ds_write_b16_d16_hi v4, v0 offset:32
	ds_write_b16 v4, v1 offset:64
	ds_write_b16_d16_hi v4, v1 offset:96
	; wave barrier
	ds_read_b64 v[0:1], v3
	s_waitcnt lgkmcnt(0)
	global_store_dwordx2 v2, v[0:1], s[2:3]
	s_endpgm
	.section	.rodata,"a",@progbits
	.p2align	6, 0x0
	.amdhsa_kernel _Z20warp_exchange_kernelILj1024ELj4ELj16ELN6hipcub21WarpExchangeAlgorithmE0E18StripedToBlockedOp6__halfEvPT4_S5_
		.amdhsa_group_segment_fixed_size 8192
		.amdhsa_private_segment_fixed_size 0
		.amdhsa_kernarg_size 16
		.amdhsa_user_sgpr_count 6
		.amdhsa_user_sgpr_private_segment_buffer 1
		.amdhsa_user_sgpr_dispatch_ptr 0
		.amdhsa_user_sgpr_queue_ptr 0
		.amdhsa_user_sgpr_kernarg_segment_ptr 1
		.amdhsa_user_sgpr_dispatch_id 0
		.amdhsa_user_sgpr_flat_scratch_init 0
		.amdhsa_user_sgpr_kernarg_preload_length 0
		.amdhsa_user_sgpr_kernarg_preload_offset 0
		.amdhsa_user_sgpr_private_segment_size 0
		.amdhsa_uses_dynamic_stack 0
		.amdhsa_system_sgpr_private_segment_wavefront_offset 0
		.amdhsa_system_sgpr_workgroup_id_x 1
		.amdhsa_system_sgpr_workgroup_id_y 0
		.amdhsa_system_sgpr_workgroup_id_z 0
		.amdhsa_system_sgpr_workgroup_info 0
		.amdhsa_system_vgpr_workitem_id 0
		.amdhsa_next_free_vgpr 5
		.amdhsa_next_free_sgpr 6
		.amdhsa_accum_offset 8
		.amdhsa_reserve_vcc 0
		.amdhsa_reserve_flat_scratch 0
		.amdhsa_float_round_mode_32 0
		.amdhsa_float_round_mode_16_64 0
		.amdhsa_float_denorm_mode_32 3
		.amdhsa_float_denorm_mode_16_64 3
		.amdhsa_dx10_clamp 1
		.amdhsa_ieee_mode 1
		.amdhsa_fp16_overflow 0
		.amdhsa_tg_split 0
		.amdhsa_exception_fp_ieee_invalid_op 0
		.amdhsa_exception_fp_denorm_src 0
		.amdhsa_exception_fp_ieee_div_zero 0
		.amdhsa_exception_fp_ieee_overflow 0
		.amdhsa_exception_fp_ieee_underflow 0
		.amdhsa_exception_fp_ieee_inexact 0
		.amdhsa_exception_int_div_zero 0
	.end_amdhsa_kernel
	.section	.text._Z20warp_exchange_kernelILj1024ELj4ELj16ELN6hipcub21WarpExchangeAlgorithmE0E18StripedToBlockedOp6__halfEvPT4_S5_,"axG",@progbits,_Z20warp_exchange_kernelILj1024ELj4ELj16ELN6hipcub21WarpExchangeAlgorithmE0E18StripedToBlockedOp6__halfEvPT4_S5_,comdat
.Lfunc_end7:
	.size	_Z20warp_exchange_kernelILj1024ELj4ELj16ELN6hipcub21WarpExchangeAlgorithmE0E18StripedToBlockedOp6__halfEvPT4_S5_, .Lfunc_end7-_Z20warp_exchange_kernelILj1024ELj4ELj16ELN6hipcub21WarpExchangeAlgorithmE0E18StripedToBlockedOp6__halfEvPT4_S5_
                                        ; -- End function
	.section	.AMDGPU.csdata,"",@progbits
; Kernel info:
; codeLenInByte = 128
; NumSgprs: 10
; NumVgprs: 5
; NumAgprs: 0
; TotalNumVgprs: 5
; ScratchSize: 0
; MemoryBound: 0
; FloatMode: 240
; IeeeMode: 1
; LDSByteSize: 8192 bytes/workgroup (compile time only)
; SGPRBlocks: 1
; VGPRBlocks: 0
; NumSGPRsForWavesPerEU: 10
; NumVGPRsForWavesPerEU: 5
; AccumOffset: 8
; Occupancy: 8
; WaveLimiterHint : 0
; COMPUTE_PGM_RSRC2:SCRATCH_EN: 0
; COMPUTE_PGM_RSRC2:USER_SGPR: 6
; COMPUTE_PGM_RSRC2:TRAP_HANDLER: 0
; COMPUTE_PGM_RSRC2:TGID_X_EN: 1
; COMPUTE_PGM_RSRC2:TGID_Y_EN: 0
; COMPUTE_PGM_RSRC2:TGID_Z_EN: 0
; COMPUTE_PGM_RSRC2:TIDIG_COMP_CNT: 0
; COMPUTE_PGM_RSRC3_GFX90A:ACCUM_OFFSET: 1
; COMPUTE_PGM_RSRC3_GFX90A:TG_SPLIT: 0
	.section	.text._Z20warp_exchange_kernelILj1024ELj1ELj16ELN6hipcub21WarpExchangeAlgorithmE0E18StripedToBlockedOp6__halfEvPT4_S5_,"axG",@progbits,_Z20warp_exchange_kernelILj1024ELj1ELj16ELN6hipcub21WarpExchangeAlgorithmE0E18StripedToBlockedOp6__halfEvPT4_S5_,comdat
	.protected	_Z20warp_exchange_kernelILj1024ELj1ELj16ELN6hipcub21WarpExchangeAlgorithmE0E18StripedToBlockedOp6__halfEvPT4_S5_ ; -- Begin function _Z20warp_exchange_kernelILj1024ELj1ELj16ELN6hipcub21WarpExchangeAlgorithmE0E18StripedToBlockedOp6__halfEvPT4_S5_
	.globl	_Z20warp_exchange_kernelILj1024ELj1ELj16ELN6hipcub21WarpExchangeAlgorithmE0E18StripedToBlockedOp6__halfEvPT4_S5_
	.p2align	8
	.type	_Z20warp_exchange_kernelILj1024ELj1ELj16ELN6hipcub21WarpExchangeAlgorithmE0E18StripedToBlockedOp6__halfEvPT4_S5_,@function
_Z20warp_exchange_kernelILj1024ELj1ELj16ELN6hipcub21WarpExchangeAlgorithmE0E18StripedToBlockedOp6__halfEvPT4_S5_: ; @_Z20warp_exchange_kernelILj1024ELj1ELj16ELN6hipcub21WarpExchangeAlgorithmE0E18StripedToBlockedOp6__halfEvPT4_S5_
; %bb.0:
	s_load_dwordx4 s[0:3], s[4:5], 0x0
	v_lshlrev_b32_e32 v0, 1, v0
	v_mbcnt_lo_u32_b32 v2, -1, 0
	v_mbcnt_hi_u32_b32 v2, -1, v2
	v_and_b32_e32 v2, 15, v2
	s_waitcnt lgkmcnt(0)
	global_load_ushort v1, v0, s[0:1]
	s_movk_i32 s0, 0x7e0
	v_lshlrev_b32_e32 v2, 1, v2
	v_and_or_b32 v2, v0, s0, v2
	s_waitcnt vmcnt(0)
	ds_write_b16 v2, v1
	; wave barrier
	ds_read_u16 v1, v2
	s_waitcnt lgkmcnt(0)
	global_store_short v0, v1, s[2:3]
	s_endpgm
	.section	.rodata,"a",@progbits
	.p2align	6, 0x0
	.amdhsa_kernel _Z20warp_exchange_kernelILj1024ELj1ELj16ELN6hipcub21WarpExchangeAlgorithmE0E18StripedToBlockedOp6__halfEvPT4_S5_
		.amdhsa_group_segment_fixed_size 2048
		.amdhsa_private_segment_fixed_size 0
		.amdhsa_kernarg_size 16
		.amdhsa_user_sgpr_count 6
		.amdhsa_user_sgpr_private_segment_buffer 1
		.amdhsa_user_sgpr_dispatch_ptr 0
		.amdhsa_user_sgpr_queue_ptr 0
		.amdhsa_user_sgpr_kernarg_segment_ptr 1
		.amdhsa_user_sgpr_dispatch_id 0
		.amdhsa_user_sgpr_flat_scratch_init 0
		.amdhsa_user_sgpr_kernarg_preload_length 0
		.amdhsa_user_sgpr_kernarg_preload_offset 0
		.amdhsa_user_sgpr_private_segment_size 0
		.amdhsa_uses_dynamic_stack 0
		.amdhsa_system_sgpr_private_segment_wavefront_offset 0
		.amdhsa_system_sgpr_workgroup_id_x 1
		.amdhsa_system_sgpr_workgroup_id_y 0
		.amdhsa_system_sgpr_workgroup_id_z 0
		.amdhsa_system_sgpr_workgroup_info 0
		.amdhsa_system_vgpr_workitem_id 0
		.amdhsa_next_free_vgpr 3
		.amdhsa_next_free_sgpr 6
		.amdhsa_accum_offset 4
		.amdhsa_reserve_vcc 0
		.amdhsa_reserve_flat_scratch 0
		.amdhsa_float_round_mode_32 0
		.amdhsa_float_round_mode_16_64 0
		.amdhsa_float_denorm_mode_32 3
		.amdhsa_float_denorm_mode_16_64 3
		.amdhsa_dx10_clamp 1
		.amdhsa_ieee_mode 1
		.amdhsa_fp16_overflow 0
		.amdhsa_tg_split 0
		.amdhsa_exception_fp_ieee_invalid_op 0
		.amdhsa_exception_fp_denorm_src 0
		.amdhsa_exception_fp_ieee_div_zero 0
		.amdhsa_exception_fp_ieee_overflow 0
		.amdhsa_exception_fp_ieee_underflow 0
		.amdhsa_exception_fp_ieee_inexact 0
		.amdhsa_exception_int_div_zero 0
	.end_amdhsa_kernel
	.section	.text._Z20warp_exchange_kernelILj1024ELj1ELj16ELN6hipcub21WarpExchangeAlgorithmE0E18StripedToBlockedOp6__halfEvPT4_S5_,"axG",@progbits,_Z20warp_exchange_kernelILj1024ELj1ELj16ELN6hipcub21WarpExchangeAlgorithmE0E18StripedToBlockedOp6__halfEvPT4_S5_,comdat
.Lfunc_end8:
	.size	_Z20warp_exchange_kernelILj1024ELj1ELj16ELN6hipcub21WarpExchangeAlgorithmE0E18StripedToBlockedOp6__halfEvPT4_S5_, .Lfunc_end8-_Z20warp_exchange_kernelILj1024ELj1ELj16ELN6hipcub21WarpExchangeAlgorithmE0E18StripedToBlockedOp6__halfEvPT4_S5_
                                        ; -- End function
	.section	.AMDGPU.csdata,"",@progbits
; Kernel info:
; codeLenInByte = 96
; NumSgprs: 10
; NumVgprs: 3
; NumAgprs: 0
; TotalNumVgprs: 3
; ScratchSize: 0
; MemoryBound: 0
; FloatMode: 240
; IeeeMode: 1
; LDSByteSize: 2048 bytes/workgroup (compile time only)
; SGPRBlocks: 1
; VGPRBlocks: 0
; NumSGPRsForWavesPerEU: 10
; NumVGPRsForWavesPerEU: 3
; AccumOffset: 4
; Occupancy: 8
; WaveLimiterHint : 0
; COMPUTE_PGM_RSRC2:SCRATCH_EN: 0
; COMPUTE_PGM_RSRC2:USER_SGPR: 6
; COMPUTE_PGM_RSRC2:TRAP_HANDLER: 0
; COMPUTE_PGM_RSRC2:TGID_X_EN: 1
; COMPUTE_PGM_RSRC2:TGID_Y_EN: 0
; COMPUTE_PGM_RSRC2:TGID_Z_EN: 0
; COMPUTE_PGM_RSRC2:TIDIG_COMP_CNT: 0
; COMPUTE_PGM_RSRC3_GFX90A:ACCUM_OFFSET: 0
; COMPUTE_PGM_RSRC3_GFX90A:TG_SPLIT: 0
	.section	.text._Z20warp_exchange_kernelILj1024ELj5ELj8ELN6hipcub21WarpExchangeAlgorithmE0E18StripedToBlockedOp6__halfEvPT4_S5_,"axG",@progbits,_Z20warp_exchange_kernelILj1024ELj5ELj8ELN6hipcub21WarpExchangeAlgorithmE0E18StripedToBlockedOp6__halfEvPT4_S5_,comdat
	.protected	_Z20warp_exchange_kernelILj1024ELj5ELj8ELN6hipcub21WarpExchangeAlgorithmE0E18StripedToBlockedOp6__halfEvPT4_S5_ ; -- Begin function _Z20warp_exchange_kernelILj1024ELj5ELj8ELN6hipcub21WarpExchangeAlgorithmE0E18StripedToBlockedOp6__halfEvPT4_S5_
	.globl	_Z20warp_exchange_kernelILj1024ELj5ELj8ELN6hipcub21WarpExchangeAlgorithmE0E18StripedToBlockedOp6__halfEvPT4_S5_
	.p2align	8
	.type	_Z20warp_exchange_kernelILj1024ELj5ELj8ELN6hipcub21WarpExchangeAlgorithmE0E18StripedToBlockedOp6__halfEvPT4_S5_,@function
_Z20warp_exchange_kernelILj1024ELj5ELj8ELN6hipcub21WarpExchangeAlgorithmE0E18StripedToBlockedOp6__halfEvPT4_S5_: ; @_Z20warp_exchange_kernelILj1024ELj5ELj8ELN6hipcub21WarpExchangeAlgorithmE0E18StripedToBlockedOp6__halfEvPT4_S5_
; %bb.0:
	s_load_dwordx4 s[0:3], s[4:5], 0x0
	v_mul_u32_u24_e32 v1, 5, v0
	v_lshlrev_b32_e32 v4, 1, v1
	v_mbcnt_lo_u32_b32 v5, -1, 0
	v_lshrrev_b32_e32 v0, 3, v0
	s_waitcnt lgkmcnt(0)
	global_load_dwordx2 v[2:3], v4, s[0:1]
	global_load_ushort v1, v4, s[0:1] offset:8
	v_mbcnt_hi_u32_b32 v5, -1, v5
	v_mul_u32_u24_e32 v0, 0x50, v0
	v_and_b32_e32 v5, 7, v5
	v_lshl_or_b32 v0, v5, 1, v0
	v_lshl_add_u32 v5, v5, 3, v0
	s_waitcnt vmcnt(1)
	ds_write_b16 v0, v2
	ds_write_b16_d16_hi v0, v2 offset:16
	ds_write_b16 v0, v3 offset:32
	ds_write_b16_d16_hi v0, v3 offset:48
	s_waitcnt vmcnt(0)
	ds_write_b16 v0, v1 offset:64
	; wave barrier
	ds_read_u16 v2, v5 offset:8
	ds_read_b64 v[0:1], v5
	s_waitcnt lgkmcnt(1)
	global_store_short v4, v2, s[2:3] offset:8
	s_waitcnt lgkmcnt(0)
	global_store_dwordx2 v4, v[0:1], s[2:3]
	s_endpgm
	.section	.rodata,"a",@progbits
	.p2align	6, 0x0
	.amdhsa_kernel _Z20warp_exchange_kernelILj1024ELj5ELj8ELN6hipcub21WarpExchangeAlgorithmE0E18StripedToBlockedOp6__halfEvPT4_S5_
		.amdhsa_group_segment_fixed_size 10240
		.amdhsa_private_segment_fixed_size 0
		.amdhsa_kernarg_size 16
		.amdhsa_user_sgpr_count 6
		.amdhsa_user_sgpr_private_segment_buffer 1
		.amdhsa_user_sgpr_dispatch_ptr 0
		.amdhsa_user_sgpr_queue_ptr 0
		.amdhsa_user_sgpr_kernarg_segment_ptr 1
		.amdhsa_user_sgpr_dispatch_id 0
		.amdhsa_user_sgpr_flat_scratch_init 0
		.amdhsa_user_sgpr_kernarg_preload_length 0
		.amdhsa_user_sgpr_kernarg_preload_offset 0
		.amdhsa_user_sgpr_private_segment_size 0
		.amdhsa_uses_dynamic_stack 0
		.amdhsa_system_sgpr_private_segment_wavefront_offset 0
		.amdhsa_system_sgpr_workgroup_id_x 1
		.amdhsa_system_sgpr_workgroup_id_y 0
		.amdhsa_system_sgpr_workgroup_id_z 0
		.amdhsa_system_sgpr_workgroup_info 0
		.amdhsa_system_vgpr_workitem_id 0
		.amdhsa_next_free_vgpr 6
		.amdhsa_next_free_sgpr 6
		.amdhsa_accum_offset 8
		.amdhsa_reserve_vcc 0
		.amdhsa_reserve_flat_scratch 0
		.amdhsa_float_round_mode_32 0
		.amdhsa_float_round_mode_16_64 0
		.amdhsa_float_denorm_mode_32 3
		.amdhsa_float_denorm_mode_16_64 3
		.amdhsa_dx10_clamp 1
		.amdhsa_ieee_mode 1
		.amdhsa_fp16_overflow 0
		.amdhsa_tg_split 0
		.amdhsa_exception_fp_ieee_invalid_op 0
		.amdhsa_exception_fp_denorm_src 0
		.amdhsa_exception_fp_ieee_div_zero 0
		.amdhsa_exception_fp_ieee_overflow 0
		.amdhsa_exception_fp_ieee_underflow 0
		.amdhsa_exception_fp_ieee_inexact 0
		.amdhsa_exception_int_div_zero 0
	.end_amdhsa_kernel
	.section	.text._Z20warp_exchange_kernelILj1024ELj5ELj8ELN6hipcub21WarpExchangeAlgorithmE0E18StripedToBlockedOp6__halfEvPT4_S5_,"axG",@progbits,_Z20warp_exchange_kernelILj1024ELj5ELj8ELN6hipcub21WarpExchangeAlgorithmE0E18StripedToBlockedOp6__halfEvPT4_S5_,comdat
.Lfunc_end9:
	.size	_Z20warp_exchange_kernelILj1024ELj5ELj8ELN6hipcub21WarpExchangeAlgorithmE0E18StripedToBlockedOp6__halfEvPT4_S5_, .Lfunc_end9-_Z20warp_exchange_kernelILj1024ELj5ELj8ELN6hipcub21WarpExchangeAlgorithmE0E18StripedToBlockedOp6__halfEvPT4_S5_
                                        ; -- End function
	.section	.AMDGPU.csdata,"",@progbits
; Kernel info:
; codeLenInByte = 176
; NumSgprs: 10
; NumVgprs: 6
; NumAgprs: 0
; TotalNumVgprs: 6
; ScratchSize: 0
; MemoryBound: 0
; FloatMode: 240
; IeeeMode: 1
; LDSByteSize: 10240 bytes/workgroup (compile time only)
; SGPRBlocks: 1
; VGPRBlocks: 0
; NumSGPRsForWavesPerEU: 10
; NumVGPRsForWavesPerEU: 6
; AccumOffset: 8
; Occupancy: 8
; WaveLimiterHint : 0
; COMPUTE_PGM_RSRC2:SCRATCH_EN: 0
; COMPUTE_PGM_RSRC2:USER_SGPR: 6
; COMPUTE_PGM_RSRC2:TRAP_HANDLER: 0
; COMPUTE_PGM_RSRC2:TGID_X_EN: 1
; COMPUTE_PGM_RSRC2:TGID_Y_EN: 0
; COMPUTE_PGM_RSRC2:TGID_Z_EN: 0
; COMPUTE_PGM_RSRC2:TIDIG_COMP_CNT: 0
; COMPUTE_PGM_RSRC3_GFX90A:ACCUM_OFFSET: 1
; COMPUTE_PGM_RSRC3_GFX90A:TG_SPLIT: 0
	.section	.text._Z20warp_exchange_kernelILj1024ELj4ELj8ELN6hipcub21WarpExchangeAlgorithmE0E18StripedToBlockedOp6__halfEvPT4_S5_,"axG",@progbits,_Z20warp_exchange_kernelILj1024ELj4ELj8ELN6hipcub21WarpExchangeAlgorithmE0E18StripedToBlockedOp6__halfEvPT4_S5_,comdat
	.protected	_Z20warp_exchange_kernelILj1024ELj4ELj8ELN6hipcub21WarpExchangeAlgorithmE0E18StripedToBlockedOp6__halfEvPT4_S5_ ; -- Begin function _Z20warp_exchange_kernelILj1024ELj4ELj8ELN6hipcub21WarpExchangeAlgorithmE0E18StripedToBlockedOp6__halfEvPT4_S5_
	.globl	_Z20warp_exchange_kernelILj1024ELj4ELj8ELN6hipcub21WarpExchangeAlgorithmE0E18StripedToBlockedOp6__halfEvPT4_S5_
	.p2align	8
	.type	_Z20warp_exchange_kernelILj1024ELj4ELj8ELN6hipcub21WarpExchangeAlgorithmE0E18StripedToBlockedOp6__halfEvPT4_S5_,@function
_Z20warp_exchange_kernelILj1024ELj4ELj8ELN6hipcub21WarpExchangeAlgorithmE0E18StripedToBlockedOp6__halfEvPT4_S5_: ; @_Z20warp_exchange_kernelILj1024ELj4ELj8ELN6hipcub21WarpExchangeAlgorithmE0E18StripedToBlockedOp6__halfEvPT4_S5_
; %bb.0:
	s_load_dwordx4 s[0:3], s[4:5], 0x0
	v_lshlrev_b32_e32 v2, 3, v0
	v_mbcnt_lo_u32_b32 v3, -1, 0
	v_mbcnt_hi_u32_b32 v3, -1, v3
	v_and_b32_e32 v3, 7, v3
	s_waitcnt lgkmcnt(0)
	global_load_dwordx2 v[0:1], v2, s[0:1]
	s_movk_i32 s0, 0x1fc0
	v_lshlrev_b32_e32 v4, 1, v3
	v_and_or_b32 v4, v2, s0, v4
	v_mad_u32_u24 v3, v3, 6, v4
	s_waitcnt vmcnt(0)
	ds_write_b16 v4, v0
	ds_write_b16_d16_hi v4, v0 offset:16
	ds_write_b16 v4, v1 offset:32
	ds_write_b16_d16_hi v4, v1 offset:48
	; wave barrier
	ds_read_b64 v[0:1], v3
	s_waitcnt lgkmcnt(0)
	global_store_dwordx2 v2, v[0:1], s[2:3]
	s_endpgm
	.section	.rodata,"a",@progbits
	.p2align	6, 0x0
	.amdhsa_kernel _Z20warp_exchange_kernelILj1024ELj4ELj8ELN6hipcub21WarpExchangeAlgorithmE0E18StripedToBlockedOp6__halfEvPT4_S5_
		.amdhsa_group_segment_fixed_size 8192
		.amdhsa_private_segment_fixed_size 0
		.amdhsa_kernarg_size 16
		.amdhsa_user_sgpr_count 6
		.amdhsa_user_sgpr_private_segment_buffer 1
		.amdhsa_user_sgpr_dispatch_ptr 0
		.amdhsa_user_sgpr_queue_ptr 0
		.amdhsa_user_sgpr_kernarg_segment_ptr 1
		.amdhsa_user_sgpr_dispatch_id 0
		.amdhsa_user_sgpr_flat_scratch_init 0
		.amdhsa_user_sgpr_kernarg_preload_length 0
		.amdhsa_user_sgpr_kernarg_preload_offset 0
		.amdhsa_user_sgpr_private_segment_size 0
		.amdhsa_uses_dynamic_stack 0
		.amdhsa_system_sgpr_private_segment_wavefront_offset 0
		.amdhsa_system_sgpr_workgroup_id_x 1
		.amdhsa_system_sgpr_workgroup_id_y 0
		.amdhsa_system_sgpr_workgroup_id_z 0
		.amdhsa_system_sgpr_workgroup_info 0
		.amdhsa_system_vgpr_workitem_id 0
		.amdhsa_next_free_vgpr 5
		.amdhsa_next_free_sgpr 6
		.amdhsa_accum_offset 8
		.amdhsa_reserve_vcc 0
		.amdhsa_reserve_flat_scratch 0
		.amdhsa_float_round_mode_32 0
		.amdhsa_float_round_mode_16_64 0
		.amdhsa_float_denorm_mode_32 3
		.amdhsa_float_denorm_mode_16_64 3
		.amdhsa_dx10_clamp 1
		.amdhsa_ieee_mode 1
		.amdhsa_fp16_overflow 0
		.amdhsa_tg_split 0
		.amdhsa_exception_fp_ieee_invalid_op 0
		.amdhsa_exception_fp_denorm_src 0
		.amdhsa_exception_fp_ieee_div_zero 0
		.amdhsa_exception_fp_ieee_overflow 0
		.amdhsa_exception_fp_ieee_underflow 0
		.amdhsa_exception_fp_ieee_inexact 0
		.amdhsa_exception_int_div_zero 0
	.end_amdhsa_kernel
	.section	.text._Z20warp_exchange_kernelILj1024ELj4ELj8ELN6hipcub21WarpExchangeAlgorithmE0E18StripedToBlockedOp6__halfEvPT4_S5_,"axG",@progbits,_Z20warp_exchange_kernelILj1024ELj4ELj8ELN6hipcub21WarpExchangeAlgorithmE0E18StripedToBlockedOp6__halfEvPT4_S5_,comdat
.Lfunc_end10:
	.size	_Z20warp_exchange_kernelILj1024ELj4ELj8ELN6hipcub21WarpExchangeAlgorithmE0E18StripedToBlockedOp6__halfEvPT4_S5_, .Lfunc_end10-_Z20warp_exchange_kernelILj1024ELj4ELj8ELN6hipcub21WarpExchangeAlgorithmE0E18StripedToBlockedOp6__halfEvPT4_S5_
                                        ; -- End function
	.section	.AMDGPU.csdata,"",@progbits
; Kernel info:
; codeLenInByte = 128
; NumSgprs: 10
; NumVgprs: 5
; NumAgprs: 0
; TotalNumVgprs: 5
; ScratchSize: 0
; MemoryBound: 0
; FloatMode: 240
; IeeeMode: 1
; LDSByteSize: 8192 bytes/workgroup (compile time only)
; SGPRBlocks: 1
; VGPRBlocks: 0
; NumSGPRsForWavesPerEU: 10
; NumVGPRsForWavesPerEU: 5
; AccumOffset: 8
; Occupancy: 8
; WaveLimiterHint : 0
; COMPUTE_PGM_RSRC2:SCRATCH_EN: 0
; COMPUTE_PGM_RSRC2:USER_SGPR: 6
; COMPUTE_PGM_RSRC2:TRAP_HANDLER: 0
; COMPUTE_PGM_RSRC2:TGID_X_EN: 1
; COMPUTE_PGM_RSRC2:TGID_Y_EN: 0
; COMPUTE_PGM_RSRC2:TGID_Z_EN: 0
; COMPUTE_PGM_RSRC2:TIDIG_COMP_CNT: 0
; COMPUTE_PGM_RSRC3_GFX90A:ACCUM_OFFSET: 1
; COMPUTE_PGM_RSRC3_GFX90A:TG_SPLIT: 0
	.section	.text._Z20warp_exchange_kernelILj1024ELj1ELj8ELN6hipcub21WarpExchangeAlgorithmE0E18StripedToBlockedOp6__halfEvPT4_S5_,"axG",@progbits,_Z20warp_exchange_kernelILj1024ELj1ELj8ELN6hipcub21WarpExchangeAlgorithmE0E18StripedToBlockedOp6__halfEvPT4_S5_,comdat
	.protected	_Z20warp_exchange_kernelILj1024ELj1ELj8ELN6hipcub21WarpExchangeAlgorithmE0E18StripedToBlockedOp6__halfEvPT4_S5_ ; -- Begin function _Z20warp_exchange_kernelILj1024ELj1ELj8ELN6hipcub21WarpExchangeAlgorithmE0E18StripedToBlockedOp6__halfEvPT4_S5_
	.globl	_Z20warp_exchange_kernelILj1024ELj1ELj8ELN6hipcub21WarpExchangeAlgorithmE0E18StripedToBlockedOp6__halfEvPT4_S5_
	.p2align	8
	.type	_Z20warp_exchange_kernelILj1024ELj1ELj8ELN6hipcub21WarpExchangeAlgorithmE0E18StripedToBlockedOp6__halfEvPT4_S5_,@function
_Z20warp_exchange_kernelILj1024ELj1ELj8ELN6hipcub21WarpExchangeAlgorithmE0E18StripedToBlockedOp6__halfEvPT4_S5_: ; @_Z20warp_exchange_kernelILj1024ELj1ELj8ELN6hipcub21WarpExchangeAlgorithmE0E18StripedToBlockedOp6__halfEvPT4_S5_
; %bb.0:
	s_load_dwordx4 s[0:3], s[4:5], 0x0
	v_lshlrev_b32_e32 v0, 1, v0
	v_mbcnt_lo_u32_b32 v2, -1, 0
	v_mbcnt_hi_u32_b32 v2, -1, v2
	v_and_b32_e32 v2, 7, v2
	s_waitcnt lgkmcnt(0)
	global_load_ushort v1, v0, s[0:1]
	s_movk_i32 s0, 0x7f0
	v_lshlrev_b32_e32 v2, 1, v2
	v_and_or_b32 v2, v0, s0, v2
	s_waitcnt vmcnt(0)
	ds_write_b16 v2, v1
	; wave barrier
	ds_read_u16 v1, v2
	s_waitcnt lgkmcnt(0)
	global_store_short v0, v1, s[2:3]
	s_endpgm
	.section	.rodata,"a",@progbits
	.p2align	6, 0x0
	.amdhsa_kernel _Z20warp_exchange_kernelILj1024ELj1ELj8ELN6hipcub21WarpExchangeAlgorithmE0E18StripedToBlockedOp6__halfEvPT4_S5_
		.amdhsa_group_segment_fixed_size 2048
		.amdhsa_private_segment_fixed_size 0
		.amdhsa_kernarg_size 16
		.amdhsa_user_sgpr_count 6
		.amdhsa_user_sgpr_private_segment_buffer 1
		.amdhsa_user_sgpr_dispatch_ptr 0
		.amdhsa_user_sgpr_queue_ptr 0
		.amdhsa_user_sgpr_kernarg_segment_ptr 1
		.amdhsa_user_sgpr_dispatch_id 0
		.amdhsa_user_sgpr_flat_scratch_init 0
		.amdhsa_user_sgpr_kernarg_preload_length 0
		.amdhsa_user_sgpr_kernarg_preload_offset 0
		.amdhsa_user_sgpr_private_segment_size 0
		.amdhsa_uses_dynamic_stack 0
		.amdhsa_system_sgpr_private_segment_wavefront_offset 0
		.amdhsa_system_sgpr_workgroup_id_x 1
		.amdhsa_system_sgpr_workgroup_id_y 0
		.amdhsa_system_sgpr_workgroup_id_z 0
		.amdhsa_system_sgpr_workgroup_info 0
		.amdhsa_system_vgpr_workitem_id 0
		.amdhsa_next_free_vgpr 3
		.amdhsa_next_free_sgpr 6
		.amdhsa_accum_offset 4
		.amdhsa_reserve_vcc 0
		.amdhsa_reserve_flat_scratch 0
		.amdhsa_float_round_mode_32 0
		.amdhsa_float_round_mode_16_64 0
		.amdhsa_float_denorm_mode_32 3
		.amdhsa_float_denorm_mode_16_64 3
		.amdhsa_dx10_clamp 1
		.amdhsa_ieee_mode 1
		.amdhsa_fp16_overflow 0
		.amdhsa_tg_split 0
		.amdhsa_exception_fp_ieee_invalid_op 0
		.amdhsa_exception_fp_denorm_src 0
		.amdhsa_exception_fp_ieee_div_zero 0
		.amdhsa_exception_fp_ieee_overflow 0
		.amdhsa_exception_fp_ieee_underflow 0
		.amdhsa_exception_fp_ieee_inexact 0
		.amdhsa_exception_int_div_zero 0
	.end_amdhsa_kernel
	.section	.text._Z20warp_exchange_kernelILj1024ELj1ELj8ELN6hipcub21WarpExchangeAlgorithmE0E18StripedToBlockedOp6__halfEvPT4_S5_,"axG",@progbits,_Z20warp_exchange_kernelILj1024ELj1ELj8ELN6hipcub21WarpExchangeAlgorithmE0E18StripedToBlockedOp6__halfEvPT4_S5_,comdat
.Lfunc_end11:
	.size	_Z20warp_exchange_kernelILj1024ELj1ELj8ELN6hipcub21WarpExchangeAlgorithmE0E18StripedToBlockedOp6__halfEvPT4_S5_, .Lfunc_end11-_Z20warp_exchange_kernelILj1024ELj1ELj8ELN6hipcub21WarpExchangeAlgorithmE0E18StripedToBlockedOp6__halfEvPT4_S5_
                                        ; -- End function
	.section	.AMDGPU.csdata,"",@progbits
; Kernel info:
; codeLenInByte = 96
; NumSgprs: 10
; NumVgprs: 3
; NumAgprs: 0
; TotalNumVgprs: 3
; ScratchSize: 0
; MemoryBound: 0
; FloatMode: 240
; IeeeMode: 1
; LDSByteSize: 2048 bytes/workgroup (compile time only)
; SGPRBlocks: 1
; VGPRBlocks: 0
; NumSGPRsForWavesPerEU: 10
; NumVGPRsForWavesPerEU: 3
; AccumOffset: 4
; Occupancy: 8
; WaveLimiterHint : 0
; COMPUTE_PGM_RSRC2:SCRATCH_EN: 0
; COMPUTE_PGM_RSRC2:USER_SGPR: 6
; COMPUTE_PGM_RSRC2:TRAP_HANDLER: 0
; COMPUTE_PGM_RSRC2:TGID_X_EN: 1
; COMPUTE_PGM_RSRC2:TGID_Y_EN: 0
; COMPUTE_PGM_RSRC2:TGID_Z_EN: 0
; COMPUTE_PGM_RSRC2:TIDIG_COMP_CNT: 0
; COMPUTE_PGM_RSRC3_GFX90A:ACCUM_OFFSET: 0
; COMPUTE_PGM_RSRC3_GFX90A:TG_SPLIT: 0
	.section	.text._Z20warp_exchange_kernelILj1024ELj5ELj64ELN6hipcub21WarpExchangeAlgorithmE0E18StripedToBlockedOpdEvPT4_S4_,"axG",@progbits,_Z20warp_exchange_kernelILj1024ELj5ELj64ELN6hipcub21WarpExchangeAlgorithmE0E18StripedToBlockedOpdEvPT4_S4_,comdat
	.protected	_Z20warp_exchange_kernelILj1024ELj5ELj64ELN6hipcub21WarpExchangeAlgorithmE0E18StripedToBlockedOpdEvPT4_S4_ ; -- Begin function _Z20warp_exchange_kernelILj1024ELj5ELj64ELN6hipcub21WarpExchangeAlgorithmE0E18StripedToBlockedOpdEvPT4_S4_
	.globl	_Z20warp_exchange_kernelILj1024ELj5ELj64ELN6hipcub21WarpExchangeAlgorithmE0E18StripedToBlockedOpdEvPT4_S4_
	.p2align	8
	.type	_Z20warp_exchange_kernelILj1024ELj5ELj64ELN6hipcub21WarpExchangeAlgorithmE0E18StripedToBlockedOpdEvPT4_S4_,@function
_Z20warp_exchange_kernelILj1024ELj5ELj64ELN6hipcub21WarpExchangeAlgorithmE0E18StripedToBlockedOpdEvPT4_S4_: ; @_Z20warp_exchange_kernelILj1024ELj5ELj64ELN6hipcub21WarpExchangeAlgorithmE0E18StripedToBlockedOpdEvPT4_S4_
; %bb.0:
	s_load_dwordx4 s[0:3], s[4:5], 0x0
	v_mul_u32_u24_e32 v1, 5, v0
	v_lshlrev_b32_e32 v12, 3, v1
	v_mbcnt_lo_u32_b32 v1, -1, 0
	v_mbcnt_hi_u32_b32 v1, -1, v1
	s_waitcnt lgkmcnt(0)
	global_load_dwordx4 v[2:5], v12, s[0:1]
	global_load_dwordx4 v[6:9], v12, s[0:1] offset:16
	global_load_dwordx2 v[10:11], v12, s[0:1] offset:32
	s_movk_i32 s0, 0xa00
	v_lshrrev_b32_e32 v0, 6, v0
	v_lshlrev_b32_e32 v13, 3, v1
	v_mul_u32_u24_e32 v1, 40, v1
	v_mad_u32_u24 v13, v0, s0, v13
	v_mad_u32_u24 v14, v0, s0, v1
	s_waitcnt vmcnt(2)
	ds_write2st64_b64 v13, v[2:3], v[4:5] offset1:1
	s_waitcnt vmcnt(1)
	ds_write2st64_b64 v13, v[6:7], v[8:9] offset0:2 offset1:3
	s_waitcnt vmcnt(0)
	ds_write_b64 v13, v[10:11] offset:2048
	; wave barrier
	ds_read2_b64 v[0:3], v14 offset1:1
	ds_read2_b64 v[4:7], v14 offset0:2 offset1:3
	ds_read_b64 v[8:9], v14 offset:32
	s_waitcnt lgkmcnt(2)
	global_store_dwordx4 v12, v[0:3], s[2:3]
	s_waitcnt lgkmcnt(1)
	global_store_dwordx4 v12, v[4:7], s[2:3] offset:16
	s_waitcnt lgkmcnt(0)
	global_store_dwordx2 v12, v[8:9], s[2:3] offset:32
	s_endpgm
	.section	.rodata,"a",@progbits
	.p2align	6, 0x0
	.amdhsa_kernel _Z20warp_exchange_kernelILj1024ELj5ELj64ELN6hipcub21WarpExchangeAlgorithmE0E18StripedToBlockedOpdEvPT4_S4_
		.amdhsa_group_segment_fixed_size 40960
		.amdhsa_private_segment_fixed_size 0
		.amdhsa_kernarg_size 16
		.amdhsa_user_sgpr_count 6
		.amdhsa_user_sgpr_private_segment_buffer 1
		.amdhsa_user_sgpr_dispatch_ptr 0
		.amdhsa_user_sgpr_queue_ptr 0
		.amdhsa_user_sgpr_kernarg_segment_ptr 1
		.amdhsa_user_sgpr_dispatch_id 0
		.amdhsa_user_sgpr_flat_scratch_init 0
		.amdhsa_user_sgpr_kernarg_preload_length 0
		.amdhsa_user_sgpr_kernarg_preload_offset 0
		.amdhsa_user_sgpr_private_segment_size 0
		.amdhsa_uses_dynamic_stack 0
		.amdhsa_system_sgpr_private_segment_wavefront_offset 0
		.amdhsa_system_sgpr_workgroup_id_x 1
		.amdhsa_system_sgpr_workgroup_id_y 0
		.amdhsa_system_sgpr_workgroup_id_z 0
		.amdhsa_system_sgpr_workgroup_info 0
		.amdhsa_system_vgpr_workitem_id 0
		.amdhsa_next_free_vgpr 15
		.amdhsa_next_free_sgpr 6
		.amdhsa_accum_offset 16
		.amdhsa_reserve_vcc 0
		.amdhsa_reserve_flat_scratch 0
		.amdhsa_float_round_mode_32 0
		.amdhsa_float_round_mode_16_64 0
		.amdhsa_float_denorm_mode_32 3
		.amdhsa_float_denorm_mode_16_64 3
		.amdhsa_dx10_clamp 1
		.amdhsa_ieee_mode 1
		.amdhsa_fp16_overflow 0
		.amdhsa_tg_split 0
		.amdhsa_exception_fp_ieee_invalid_op 0
		.amdhsa_exception_fp_denorm_src 0
		.amdhsa_exception_fp_ieee_div_zero 0
		.amdhsa_exception_fp_ieee_overflow 0
		.amdhsa_exception_fp_ieee_underflow 0
		.amdhsa_exception_fp_ieee_inexact 0
		.amdhsa_exception_int_div_zero 0
	.end_amdhsa_kernel
	.section	.text._Z20warp_exchange_kernelILj1024ELj5ELj64ELN6hipcub21WarpExchangeAlgorithmE0E18StripedToBlockedOpdEvPT4_S4_,"axG",@progbits,_Z20warp_exchange_kernelILj1024ELj5ELj64ELN6hipcub21WarpExchangeAlgorithmE0E18StripedToBlockedOpdEvPT4_S4_,comdat
.Lfunc_end12:
	.size	_Z20warp_exchange_kernelILj1024ELj5ELj64ELN6hipcub21WarpExchangeAlgorithmE0E18StripedToBlockedOpdEvPT4_S4_, .Lfunc_end12-_Z20warp_exchange_kernelILj1024ELj5ELj64ELN6hipcub21WarpExchangeAlgorithmE0E18StripedToBlockedOpdEvPT4_S4_
                                        ; -- End function
	.section	.AMDGPU.csdata,"",@progbits
; Kernel info:
; codeLenInByte = 192
; NumSgprs: 10
; NumVgprs: 15
; NumAgprs: 0
; TotalNumVgprs: 15
; ScratchSize: 0
; MemoryBound: 1
; FloatMode: 240
; IeeeMode: 1
; LDSByteSize: 40960 bytes/workgroup (compile time only)
; SGPRBlocks: 1
; VGPRBlocks: 1
; NumSGPRsForWavesPerEU: 10
; NumVGPRsForWavesPerEU: 15
; AccumOffset: 16
; Occupancy: 4
; WaveLimiterHint : 1
; COMPUTE_PGM_RSRC2:SCRATCH_EN: 0
; COMPUTE_PGM_RSRC2:USER_SGPR: 6
; COMPUTE_PGM_RSRC2:TRAP_HANDLER: 0
; COMPUTE_PGM_RSRC2:TGID_X_EN: 1
; COMPUTE_PGM_RSRC2:TGID_Y_EN: 0
; COMPUTE_PGM_RSRC2:TGID_Z_EN: 0
; COMPUTE_PGM_RSRC2:TIDIG_COMP_CNT: 0
; COMPUTE_PGM_RSRC3_GFX90A:ACCUM_OFFSET: 3
; COMPUTE_PGM_RSRC3_GFX90A:TG_SPLIT: 0
	.section	.text._Z20warp_exchange_kernelILj1024ELj4ELj64ELN6hipcub21WarpExchangeAlgorithmE0E18StripedToBlockedOpdEvPT4_S4_,"axG",@progbits,_Z20warp_exchange_kernelILj1024ELj4ELj64ELN6hipcub21WarpExchangeAlgorithmE0E18StripedToBlockedOpdEvPT4_S4_,comdat
	.protected	_Z20warp_exchange_kernelILj1024ELj4ELj64ELN6hipcub21WarpExchangeAlgorithmE0E18StripedToBlockedOpdEvPT4_S4_ ; -- Begin function _Z20warp_exchange_kernelILj1024ELj4ELj64ELN6hipcub21WarpExchangeAlgorithmE0E18StripedToBlockedOpdEvPT4_S4_
	.globl	_Z20warp_exchange_kernelILj1024ELj4ELj64ELN6hipcub21WarpExchangeAlgorithmE0E18StripedToBlockedOpdEvPT4_S4_
	.p2align	8
	.type	_Z20warp_exchange_kernelILj1024ELj4ELj64ELN6hipcub21WarpExchangeAlgorithmE0E18StripedToBlockedOpdEvPT4_S4_,@function
_Z20warp_exchange_kernelILj1024ELj4ELj64ELN6hipcub21WarpExchangeAlgorithmE0E18StripedToBlockedOpdEvPT4_S4_: ; @_Z20warp_exchange_kernelILj1024ELj4ELj64ELN6hipcub21WarpExchangeAlgorithmE0E18StripedToBlockedOpdEvPT4_S4_
; %bb.0:
	s_load_dwordx4 s[0:3], s[4:5], 0x0
	v_lshlrev_b32_e32 v8, 5, v0
	v_mbcnt_lo_u32_b32 v9, -1, 0
	v_mbcnt_hi_u32_b32 v9, -1, v9
	v_and_b32_e32 v10, 0x7800, v8
	s_waitcnt lgkmcnt(0)
	global_load_dwordx4 v[0:3], v8, s[0:1]
	global_load_dwordx4 v[4:7], v8, s[0:1] offset:16
	v_lshl_or_b32 v11, v9, 3, v10
	v_lshl_add_u32 v9, v9, 5, v10
	s_waitcnt vmcnt(1)
	ds_write2st64_b64 v11, v[0:1], v[2:3] offset1:1
	s_waitcnt vmcnt(0)
	ds_write2st64_b64 v11, v[4:5], v[6:7] offset0:2 offset1:3
	; wave barrier
	ds_read_b128 v[0:3], v9
	ds_read_b128 v[4:7], v9 offset:16
	s_waitcnt lgkmcnt(1)
	global_store_dwordx4 v8, v[0:3], s[2:3]
	s_waitcnt lgkmcnt(0)
	global_store_dwordx4 v8, v[4:7], s[2:3] offset:16
	s_endpgm
	.section	.rodata,"a",@progbits
	.p2align	6, 0x0
	.amdhsa_kernel _Z20warp_exchange_kernelILj1024ELj4ELj64ELN6hipcub21WarpExchangeAlgorithmE0E18StripedToBlockedOpdEvPT4_S4_
		.amdhsa_group_segment_fixed_size 32768
		.amdhsa_private_segment_fixed_size 0
		.amdhsa_kernarg_size 16
		.amdhsa_user_sgpr_count 6
		.amdhsa_user_sgpr_private_segment_buffer 1
		.amdhsa_user_sgpr_dispatch_ptr 0
		.amdhsa_user_sgpr_queue_ptr 0
		.amdhsa_user_sgpr_kernarg_segment_ptr 1
		.amdhsa_user_sgpr_dispatch_id 0
		.amdhsa_user_sgpr_flat_scratch_init 0
		.amdhsa_user_sgpr_kernarg_preload_length 0
		.amdhsa_user_sgpr_kernarg_preload_offset 0
		.amdhsa_user_sgpr_private_segment_size 0
		.amdhsa_uses_dynamic_stack 0
		.amdhsa_system_sgpr_private_segment_wavefront_offset 0
		.amdhsa_system_sgpr_workgroup_id_x 1
		.amdhsa_system_sgpr_workgroup_id_y 0
		.amdhsa_system_sgpr_workgroup_id_z 0
		.amdhsa_system_sgpr_workgroup_info 0
		.amdhsa_system_vgpr_workitem_id 0
		.amdhsa_next_free_vgpr 12
		.amdhsa_next_free_sgpr 6
		.amdhsa_accum_offset 12
		.amdhsa_reserve_vcc 0
		.amdhsa_reserve_flat_scratch 0
		.amdhsa_float_round_mode_32 0
		.amdhsa_float_round_mode_16_64 0
		.amdhsa_float_denorm_mode_32 3
		.amdhsa_float_denorm_mode_16_64 3
		.amdhsa_dx10_clamp 1
		.amdhsa_ieee_mode 1
		.amdhsa_fp16_overflow 0
		.amdhsa_tg_split 0
		.amdhsa_exception_fp_ieee_invalid_op 0
		.amdhsa_exception_fp_denorm_src 0
		.amdhsa_exception_fp_ieee_div_zero 0
		.amdhsa_exception_fp_ieee_overflow 0
		.amdhsa_exception_fp_ieee_underflow 0
		.amdhsa_exception_fp_ieee_inexact 0
		.amdhsa_exception_int_div_zero 0
	.end_amdhsa_kernel
	.section	.text._Z20warp_exchange_kernelILj1024ELj4ELj64ELN6hipcub21WarpExchangeAlgorithmE0E18StripedToBlockedOpdEvPT4_S4_,"axG",@progbits,_Z20warp_exchange_kernelILj1024ELj4ELj64ELN6hipcub21WarpExchangeAlgorithmE0E18StripedToBlockedOpdEvPT4_S4_,comdat
.Lfunc_end13:
	.size	_Z20warp_exchange_kernelILj1024ELj4ELj64ELN6hipcub21WarpExchangeAlgorithmE0E18StripedToBlockedOpdEvPT4_S4_, .Lfunc_end13-_Z20warp_exchange_kernelILj1024ELj4ELj64ELN6hipcub21WarpExchangeAlgorithmE0E18StripedToBlockedOpdEvPT4_S4_
                                        ; -- End function
	.section	.AMDGPU.csdata,"",@progbits
; Kernel info:
; codeLenInByte = 140
; NumSgprs: 10
; NumVgprs: 12
; NumAgprs: 0
; TotalNumVgprs: 12
; ScratchSize: 0
; MemoryBound: 1
; FloatMode: 240
; IeeeMode: 1
; LDSByteSize: 32768 bytes/workgroup (compile time only)
; SGPRBlocks: 1
; VGPRBlocks: 1
; NumSGPRsForWavesPerEU: 10
; NumVGPRsForWavesPerEU: 12
; AccumOffset: 12
; Occupancy: 8
; WaveLimiterHint : 1
; COMPUTE_PGM_RSRC2:SCRATCH_EN: 0
; COMPUTE_PGM_RSRC2:USER_SGPR: 6
; COMPUTE_PGM_RSRC2:TRAP_HANDLER: 0
; COMPUTE_PGM_RSRC2:TGID_X_EN: 1
; COMPUTE_PGM_RSRC2:TGID_Y_EN: 0
; COMPUTE_PGM_RSRC2:TGID_Z_EN: 0
; COMPUTE_PGM_RSRC2:TIDIG_COMP_CNT: 0
; COMPUTE_PGM_RSRC3_GFX90A:ACCUM_OFFSET: 2
; COMPUTE_PGM_RSRC3_GFX90A:TG_SPLIT: 0
	.section	.text._Z20warp_exchange_kernelILj1024ELj1ELj64ELN6hipcub21WarpExchangeAlgorithmE0E18StripedToBlockedOpdEvPT4_S4_,"axG",@progbits,_Z20warp_exchange_kernelILj1024ELj1ELj64ELN6hipcub21WarpExchangeAlgorithmE0E18StripedToBlockedOpdEvPT4_S4_,comdat
	.protected	_Z20warp_exchange_kernelILj1024ELj1ELj64ELN6hipcub21WarpExchangeAlgorithmE0E18StripedToBlockedOpdEvPT4_S4_ ; -- Begin function _Z20warp_exchange_kernelILj1024ELj1ELj64ELN6hipcub21WarpExchangeAlgorithmE0E18StripedToBlockedOpdEvPT4_S4_
	.globl	_Z20warp_exchange_kernelILj1024ELj1ELj64ELN6hipcub21WarpExchangeAlgorithmE0E18StripedToBlockedOpdEvPT4_S4_
	.p2align	8
	.type	_Z20warp_exchange_kernelILj1024ELj1ELj64ELN6hipcub21WarpExchangeAlgorithmE0E18StripedToBlockedOpdEvPT4_S4_,@function
_Z20warp_exchange_kernelILj1024ELj1ELj64ELN6hipcub21WarpExchangeAlgorithmE0E18StripedToBlockedOpdEvPT4_S4_: ; @_Z20warp_exchange_kernelILj1024ELj1ELj64ELN6hipcub21WarpExchangeAlgorithmE0E18StripedToBlockedOpdEvPT4_S4_
; %bb.0:
	s_load_dwordx4 s[0:3], s[4:5], 0x0
	v_lshlrev_b32_e32 v2, 3, v0
	v_mbcnt_lo_u32_b32 v3, -1, 0
	v_mbcnt_hi_u32_b32 v3, -1, v3
	v_and_b32_e32 v4, 0x1e00, v2
	s_waitcnt lgkmcnt(0)
	global_load_dwordx2 v[0:1], v2, s[0:1]
	v_lshl_add_u32 v3, v3, 3, v4
	s_waitcnt vmcnt(0)
	ds_write_b64 v3, v[0:1]
	; wave barrier
	ds_read_b64 v[0:1], v3
	s_waitcnt lgkmcnt(0)
	global_store_dwordx2 v2, v[0:1], s[2:3]
	s_endpgm
	.section	.rodata,"a",@progbits
	.p2align	6, 0x0
	.amdhsa_kernel _Z20warp_exchange_kernelILj1024ELj1ELj64ELN6hipcub21WarpExchangeAlgorithmE0E18StripedToBlockedOpdEvPT4_S4_
		.amdhsa_group_segment_fixed_size 8192
		.amdhsa_private_segment_fixed_size 0
		.amdhsa_kernarg_size 16
		.amdhsa_user_sgpr_count 6
		.amdhsa_user_sgpr_private_segment_buffer 1
		.amdhsa_user_sgpr_dispatch_ptr 0
		.amdhsa_user_sgpr_queue_ptr 0
		.amdhsa_user_sgpr_kernarg_segment_ptr 1
		.amdhsa_user_sgpr_dispatch_id 0
		.amdhsa_user_sgpr_flat_scratch_init 0
		.amdhsa_user_sgpr_kernarg_preload_length 0
		.amdhsa_user_sgpr_kernarg_preload_offset 0
		.amdhsa_user_sgpr_private_segment_size 0
		.amdhsa_uses_dynamic_stack 0
		.amdhsa_system_sgpr_private_segment_wavefront_offset 0
		.amdhsa_system_sgpr_workgroup_id_x 1
		.amdhsa_system_sgpr_workgroup_id_y 0
		.amdhsa_system_sgpr_workgroup_id_z 0
		.amdhsa_system_sgpr_workgroup_info 0
		.amdhsa_system_vgpr_workitem_id 0
		.amdhsa_next_free_vgpr 5
		.amdhsa_next_free_sgpr 6
		.amdhsa_accum_offset 8
		.amdhsa_reserve_vcc 0
		.amdhsa_reserve_flat_scratch 0
		.amdhsa_float_round_mode_32 0
		.amdhsa_float_round_mode_16_64 0
		.amdhsa_float_denorm_mode_32 3
		.amdhsa_float_denorm_mode_16_64 3
		.amdhsa_dx10_clamp 1
		.amdhsa_ieee_mode 1
		.amdhsa_fp16_overflow 0
		.amdhsa_tg_split 0
		.amdhsa_exception_fp_ieee_invalid_op 0
		.amdhsa_exception_fp_denorm_src 0
		.amdhsa_exception_fp_ieee_div_zero 0
		.amdhsa_exception_fp_ieee_overflow 0
		.amdhsa_exception_fp_ieee_underflow 0
		.amdhsa_exception_fp_ieee_inexact 0
		.amdhsa_exception_int_div_zero 0
	.end_amdhsa_kernel
	.section	.text._Z20warp_exchange_kernelILj1024ELj1ELj64ELN6hipcub21WarpExchangeAlgorithmE0E18StripedToBlockedOpdEvPT4_S4_,"axG",@progbits,_Z20warp_exchange_kernelILj1024ELj1ELj64ELN6hipcub21WarpExchangeAlgorithmE0E18StripedToBlockedOpdEvPT4_S4_,comdat
.Lfunc_end14:
	.size	_Z20warp_exchange_kernelILj1024ELj1ELj64ELN6hipcub21WarpExchangeAlgorithmE0E18StripedToBlockedOpdEvPT4_S4_, .Lfunc_end14-_Z20warp_exchange_kernelILj1024ELj1ELj64ELN6hipcub21WarpExchangeAlgorithmE0E18StripedToBlockedOpdEvPT4_S4_
                                        ; -- End function
	.section	.AMDGPU.csdata,"",@progbits
; Kernel info:
; codeLenInByte = 92
; NumSgprs: 10
; NumVgprs: 5
; NumAgprs: 0
; TotalNumVgprs: 5
; ScratchSize: 0
; MemoryBound: 0
; FloatMode: 240
; IeeeMode: 1
; LDSByteSize: 8192 bytes/workgroup (compile time only)
; SGPRBlocks: 1
; VGPRBlocks: 0
; NumSGPRsForWavesPerEU: 10
; NumVGPRsForWavesPerEU: 5
; AccumOffset: 8
; Occupancy: 8
; WaveLimiterHint : 0
; COMPUTE_PGM_RSRC2:SCRATCH_EN: 0
; COMPUTE_PGM_RSRC2:USER_SGPR: 6
; COMPUTE_PGM_RSRC2:TRAP_HANDLER: 0
; COMPUTE_PGM_RSRC2:TGID_X_EN: 1
; COMPUTE_PGM_RSRC2:TGID_Y_EN: 0
; COMPUTE_PGM_RSRC2:TGID_Z_EN: 0
; COMPUTE_PGM_RSRC2:TIDIG_COMP_CNT: 0
; COMPUTE_PGM_RSRC3_GFX90A:ACCUM_OFFSET: 1
; COMPUTE_PGM_RSRC3_GFX90A:TG_SPLIT: 0
	.section	.text._Z20warp_exchange_kernelILj1024ELj5ELj32ELN6hipcub21WarpExchangeAlgorithmE0E18StripedToBlockedOpdEvPT4_S4_,"axG",@progbits,_Z20warp_exchange_kernelILj1024ELj5ELj32ELN6hipcub21WarpExchangeAlgorithmE0E18StripedToBlockedOpdEvPT4_S4_,comdat
	.protected	_Z20warp_exchange_kernelILj1024ELj5ELj32ELN6hipcub21WarpExchangeAlgorithmE0E18StripedToBlockedOpdEvPT4_S4_ ; -- Begin function _Z20warp_exchange_kernelILj1024ELj5ELj32ELN6hipcub21WarpExchangeAlgorithmE0E18StripedToBlockedOpdEvPT4_S4_
	.globl	_Z20warp_exchange_kernelILj1024ELj5ELj32ELN6hipcub21WarpExchangeAlgorithmE0E18StripedToBlockedOpdEvPT4_S4_
	.p2align	8
	.type	_Z20warp_exchange_kernelILj1024ELj5ELj32ELN6hipcub21WarpExchangeAlgorithmE0E18StripedToBlockedOpdEvPT4_S4_,@function
_Z20warp_exchange_kernelILj1024ELj5ELj32ELN6hipcub21WarpExchangeAlgorithmE0E18StripedToBlockedOpdEvPT4_S4_: ; @_Z20warp_exchange_kernelILj1024ELj5ELj32ELN6hipcub21WarpExchangeAlgorithmE0E18StripedToBlockedOpdEvPT4_S4_
; %bb.0:
	s_load_dwordx4 s[0:3], s[4:5], 0x0
	v_mul_u32_u24_e32 v1, 5, v0
	v_lshlrev_b32_e32 v12, 3, v1
	v_mbcnt_lo_u32_b32 v1, -1, 0
	v_lshrrev_b32_e32 v0, 5, v0
	s_waitcnt lgkmcnt(0)
	global_load_dwordx4 v[2:5], v12, s[0:1]
	global_load_dwordx4 v[6:9], v12, s[0:1] offset:16
	global_load_dwordx2 v[10:11], v12, s[0:1] offset:32
	v_mbcnt_hi_u32_b32 v1, -1, v1
	v_mul_u32_u24_e32 v0, 0x500, v0
	v_and_b32_e32 v1, 31, v1
	v_lshl_or_b32 v0, v1, 3, v0
	v_lshl_add_u32 v13, v1, 5, v0
	s_waitcnt vmcnt(2)
	ds_write2_b64 v0, v[2:3], v[4:5] offset1:32
	s_waitcnt vmcnt(1)
	ds_write2_b64 v0, v[6:7], v[8:9] offset0:64 offset1:96
	s_waitcnt vmcnt(0)
	ds_write_b64 v0, v[10:11] offset:1024
	; wave barrier
	ds_read2_b64 v[0:3], v13 offset1:1
	ds_read2_b64 v[4:7], v13 offset0:2 offset1:3
	ds_read_b64 v[8:9], v13 offset:32
	s_waitcnt lgkmcnt(2)
	global_store_dwordx4 v12, v[0:3], s[2:3]
	s_waitcnt lgkmcnt(1)
	global_store_dwordx4 v12, v[4:7], s[2:3] offset:16
	s_waitcnt lgkmcnt(0)
	global_store_dwordx2 v12, v[8:9], s[2:3] offset:32
	s_endpgm
	.section	.rodata,"a",@progbits
	.p2align	6, 0x0
	.amdhsa_kernel _Z20warp_exchange_kernelILj1024ELj5ELj32ELN6hipcub21WarpExchangeAlgorithmE0E18StripedToBlockedOpdEvPT4_S4_
		.amdhsa_group_segment_fixed_size 40960
		.amdhsa_private_segment_fixed_size 0
		.amdhsa_kernarg_size 16
		.amdhsa_user_sgpr_count 6
		.amdhsa_user_sgpr_private_segment_buffer 1
		.amdhsa_user_sgpr_dispatch_ptr 0
		.amdhsa_user_sgpr_queue_ptr 0
		.amdhsa_user_sgpr_kernarg_segment_ptr 1
		.amdhsa_user_sgpr_dispatch_id 0
		.amdhsa_user_sgpr_flat_scratch_init 0
		.amdhsa_user_sgpr_kernarg_preload_length 0
		.amdhsa_user_sgpr_kernarg_preload_offset 0
		.amdhsa_user_sgpr_private_segment_size 0
		.amdhsa_uses_dynamic_stack 0
		.amdhsa_system_sgpr_private_segment_wavefront_offset 0
		.amdhsa_system_sgpr_workgroup_id_x 1
		.amdhsa_system_sgpr_workgroup_id_y 0
		.amdhsa_system_sgpr_workgroup_id_z 0
		.amdhsa_system_sgpr_workgroup_info 0
		.amdhsa_system_vgpr_workitem_id 0
		.amdhsa_next_free_vgpr 14
		.amdhsa_next_free_sgpr 6
		.amdhsa_accum_offset 16
		.amdhsa_reserve_vcc 0
		.amdhsa_reserve_flat_scratch 0
		.amdhsa_float_round_mode_32 0
		.amdhsa_float_round_mode_16_64 0
		.amdhsa_float_denorm_mode_32 3
		.amdhsa_float_denorm_mode_16_64 3
		.amdhsa_dx10_clamp 1
		.amdhsa_ieee_mode 1
		.amdhsa_fp16_overflow 0
		.amdhsa_tg_split 0
		.amdhsa_exception_fp_ieee_invalid_op 0
		.amdhsa_exception_fp_denorm_src 0
		.amdhsa_exception_fp_ieee_div_zero 0
		.amdhsa_exception_fp_ieee_overflow 0
		.amdhsa_exception_fp_ieee_underflow 0
		.amdhsa_exception_fp_ieee_inexact 0
		.amdhsa_exception_int_div_zero 0
	.end_amdhsa_kernel
	.section	.text._Z20warp_exchange_kernelILj1024ELj5ELj32ELN6hipcub21WarpExchangeAlgorithmE0E18StripedToBlockedOpdEvPT4_S4_,"axG",@progbits,_Z20warp_exchange_kernelILj1024ELj5ELj32ELN6hipcub21WarpExchangeAlgorithmE0E18StripedToBlockedOpdEvPT4_S4_,comdat
.Lfunc_end15:
	.size	_Z20warp_exchange_kernelILj1024ELj5ELj32ELN6hipcub21WarpExchangeAlgorithmE0E18StripedToBlockedOpdEvPT4_S4_, .Lfunc_end15-_Z20warp_exchange_kernelILj1024ELj5ELj32ELN6hipcub21WarpExchangeAlgorithmE0E18StripedToBlockedOpdEvPT4_S4_
                                        ; -- End function
	.section	.AMDGPU.csdata,"",@progbits
; Kernel info:
; codeLenInByte = 192
; NumSgprs: 10
; NumVgprs: 14
; NumAgprs: 0
; TotalNumVgprs: 14
; ScratchSize: 0
; MemoryBound: 1
; FloatMode: 240
; IeeeMode: 1
; LDSByteSize: 40960 bytes/workgroup (compile time only)
; SGPRBlocks: 1
; VGPRBlocks: 1
; NumSGPRsForWavesPerEU: 10
; NumVGPRsForWavesPerEU: 14
; AccumOffset: 16
; Occupancy: 4
; WaveLimiterHint : 1
; COMPUTE_PGM_RSRC2:SCRATCH_EN: 0
; COMPUTE_PGM_RSRC2:USER_SGPR: 6
; COMPUTE_PGM_RSRC2:TRAP_HANDLER: 0
; COMPUTE_PGM_RSRC2:TGID_X_EN: 1
; COMPUTE_PGM_RSRC2:TGID_Y_EN: 0
; COMPUTE_PGM_RSRC2:TGID_Z_EN: 0
; COMPUTE_PGM_RSRC2:TIDIG_COMP_CNT: 0
; COMPUTE_PGM_RSRC3_GFX90A:ACCUM_OFFSET: 3
; COMPUTE_PGM_RSRC3_GFX90A:TG_SPLIT: 0
	.section	.text._Z20warp_exchange_kernelILj1024ELj4ELj32ELN6hipcub21WarpExchangeAlgorithmE0E18StripedToBlockedOpdEvPT4_S4_,"axG",@progbits,_Z20warp_exchange_kernelILj1024ELj4ELj32ELN6hipcub21WarpExchangeAlgorithmE0E18StripedToBlockedOpdEvPT4_S4_,comdat
	.protected	_Z20warp_exchange_kernelILj1024ELj4ELj32ELN6hipcub21WarpExchangeAlgorithmE0E18StripedToBlockedOpdEvPT4_S4_ ; -- Begin function _Z20warp_exchange_kernelILj1024ELj4ELj32ELN6hipcub21WarpExchangeAlgorithmE0E18StripedToBlockedOpdEvPT4_S4_
	.globl	_Z20warp_exchange_kernelILj1024ELj4ELj32ELN6hipcub21WarpExchangeAlgorithmE0E18StripedToBlockedOpdEvPT4_S4_
	.p2align	8
	.type	_Z20warp_exchange_kernelILj1024ELj4ELj32ELN6hipcub21WarpExchangeAlgorithmE0E18StripedToBlockedOpdEvPT4_S4_,@function
_Z20warp_exchange_kernelILj1024ELj4ELj32ELN6hipcub21WarpExchangeAlgorithmE0E18StripedToBlockedOpdEvPT4_S4_: ; @_Z20warp_exchange_kernelILj1024ELj4ELj32ELN6hipcub21WarpExchangeAlgorithmE0E18StripedToBlockedOpdEvPT4_S4_
; %bb.0:
	s_load_dwordx4 s[0:3], s[4:5], 0x0
	v_lshlrev_b32_e32 v8, 5, v0
	v_mbcnt_lo_u32_b32 v9, -1, 0
	v_mbcnt_hi_u32_b32 v9, -1, v9
	v_and_b32_e32 v9, 31, v9
	s_waitcnt lgkmcnt(0)
	global_load_dwordx4 v[0:3], v8, s[0:1]
	global_load_dwordx4 v[4:7], v8, s[0:1] offset:16
	s_movk_i32 s0, 0x7c00
	v_lshlrev_b32_e32 v10, 3, v9
	v_and_or_b32 v10, v8, s0, v10
	v_mad_u32_u24 v9, v9, 24, v10
	s_waitcnt vmcnt(1)
	ds_write2_b64 v10, v[0:1], v[2:3] offset1:32
	s_waitcnt vmcnt(0)
	ds_write2_b64 v10, v[4:5], v[6:7] offset0:64 offset1:96
	; wave barrier
	ds_read_b128 v[0:3], v9
	ds_read_b128 v[4:7], v9 offset:16
	s_waitcnt lgkmcnt(1)
	global_store_dwordx4 v8, v[0:3], s[2:3]
	s_waitcnt lgkmcnt(0)
	global_store_dwordx4 v8, v[4:7], s[2:3] offset:16
	s_endpgm
	.section	.rodata,"a",@progbits
	.p2align	6, 0x0
	.amdhsa_kernel _Z20warp_exchange_kernelILj1024ELj4ELj32ELN6hipcub21WarpExchangeAlgorithmE0E18StripedToBlockedOpdEvPT4_S4_
		.amdhsa_group_segment_fixed_size 32768
		.amdhsa_private_segment_fixed_size 0
		.amdhsa_kernarg_size 16
		.amdhsa_user_sgpr_count 6
		.amdhsa_user_sgpr_private_segment_buffer 1
		.amdhsa_user_sgpr_dispatch_ptr 0
		.amdhsa_user_sgpr_queue_ptr 0
		.amdhsa_user_sgpr_kernarg_segment_ptr 1
		.amdhsa_user_sgpr_dispatch_id 0
		.amdhsa_user_sgpr_flat_scratch_init 0
		.amdhsa_user_sgpr_kernarg_preload_length 0
		.amdhsa_user_sgpr_kernarg_preload_offset 0
		.amdhsa_user_sgpr_private_segment_size 0
		.amdhsa_uses_dynamic_stack 0
		.amdhsa_system_sgpr_private_segment_wavefront_offset 0
		.amdhsa_system_sgpr_workgroup_id_x 1
		.amdhsa_system_sgpr_workgroup_id_y 0
		.amdhsa_system_sgpr_workgroup_id_z 0
		.amdhsa_system_sgpr_workgroup_info 0
		.amdhsa_system_vgpr_workitem_id 0
		.amdhsa_next_free_vgpr 11
		.amdhsa_next_free_sgpr 6
		.amdhsa_accum_offset 12
		.amdhsa_reserve_vcc 0
		.amdhsa_reserve_flat_scratch 0
		.amdhsa_float_round_mode_32 0
		.amdhsa_float_round_mode_16_64 0
		.amdhsa_float_denorm_mode_32 3
		.amdhsa_float_denorm_mode_16_64 3
		.amdhsa_dx10_clamp 1
		.amdhsa_ieee_mode 1
		.amdhsa_fp16_overflow 0
		.amdhsa_tg_split 0
		.amdhsa_exception_fp_ieee_invalid_op 0
		.amdhsa_exception_fp_denorm_src 0
		.amdhsa_exception_fp_ieee_div_zero 0
		.amdhsa_exception_fp_ieee_overflow 0
		.amdhsa_exception_fp_ieee_underflow 0
		.amdhsa_exception_fp_ieee_inexact 0
		.amdhsa_exception_int_div_zero 0
	.end_amdhsa_kernel
	.section	.text._Z20warp_exchange_kernelILj1024ELj4ELj32ELN6hipcub21WarpExchangeAlgorithmE0E18StripedToBlockedOpdEvPT4_S4_,"axG",@progbits,_Z20warp_exchange_kernelILj1024ELj4ELj32ELN6hipcub21WarpExchangeAlgorithmE0E18StripedToBlockedOpdEvPT4_S4_,comdat
.Lfunc_end16:
	.size	_Z20warp_exchange_kernelILj1024ELj4ELj32ELN6hipcub21WarpExchangeAlgorithmE0E18StripedToBlockedOpdEvPT4_S4_, .Lfunc_end16-_Z20warp_exchange_kernelILj1024ELj4ELj32ELN6hipcub21WarpExchangeAlgorithmE0E18StripedToBlockedOpdEvPT4_S4_
                                        ; -- End function
	.section	.AMDGPU.csdata,"",@progbits
; Kernel info:
; codeLenInByte = 144
; NumSgprs: 10
; NumVgprs: 11
; NumAgprs: 0
; TotalNumVgprs: 11
; ScratchSize: 0
; MemoryBound: 1
; FloatMode: 240
; IeeeMode: 1
; LDSByteSize: 32768 bytes/workgroup (compile time only)
; SGPRBlocks: 1
; VGPRBlocks: 1
; NumSGPRsForWavesPerEU: 10
; NumVGPRsForWavesPerEU: 11
; AccumOffset: 12
; Occupancy: 8
; WaveLimiterHint : 1
; COMPUTE_PGM_RSRC2:SCRATCH_EN: 0
; COMPUTE_PGM_RSRC2:USER_SGPR: 6
; COMPUTE_PGM_RSRC2:TRAP_HANDLER: 0
; COMPUTE_PGM_RSRC2:TGID_X_EN: 1
; COMPUTE_PGM_RSRC2:TGID_Y_EN: 0
; COMPUTE_PGM_RSRC2:TGID_Z_EN: 0
; COMPUTE_PGM_RSRC2:TIDIG_COMP_CNT: 0
; COMPUTE_PGM_RSRC3_GFX90A:ACCUM_OFFSET: 2
; COMPUTE_PGM_RSRC3_GFX90A:TG_SPLIT: 0
	.section	.text._Z20warp_exchange_kernelILj1024ELj1ELj32ELN6hipcub21WarpExchangeAlgorithmE0E18StripedToBlockedOpdEvPT4_S4_,"axG",@progbits,_Z20warp_exchange_kernelILj1024ELj1ELj32ELN6hipcub21WarpExchangeAlgorithmE0E18StripedToBlockedOpdEvPT4_S4_,comdat
	.protected	_Z20warp_exchange_kernelILj1024ELj1ELj32ELN6hipcub21WarpExchangeAlgorithmE0E18StripedToBlockedOpdEvPT4_S4_ ; -- Begin function _Z20warp_exchange_kernelILj1024ELj1ELj32ELN6hipcub21WarpExchangeAlgorithmE0E18StripedToBlockedOpdEvPT4_S4_
	.globl	_Z20warp_exchange_kernelILj1024ELj1ELj32ELN6hipcub21WarpExchangeAlgorithmE0E18StripedToBlockedOpdEvPT4_S4_
	.p2align	8
	.type	_Z20warp_exchange_kernelILj1024ELj1ELj32ELN6hipcub21WarpExchangeAlgorithmE0E18StripedToBlockedOpdEvPT4_S4_,@function
_Z20warp_exchange_kernelILj1024ELj1ELj32ELN6hipcub21WarpExchangeAlgorithmE0E18StripedToBlockedOpdEvPT4_S4_: ; @_Z20warp_exchange_kernelILj1024ELj1ELj32ELN6hipcub21WarpExchangeAlgorithmE0E18StripedToBlockedOpdEvPT4_S4_
; %bb.0:
	s_load_dwordx4 s[0:3], s[4:5], 0x0
	v_lshlrev_b32_e32 v2, 3, v0
	v_mbcnt_lo_u32_b32 v3, -1, 0
	v_mbcnt_hi_u32_b32 v3, -1, v3
	v_and_b32_e32 v3, 31, v3
	s_waitcnt lgkmcnt(0)
	global_load_dwordx2 v[0:1], v2, s[0:1]
	s_movk_i32 s0, 0x1f00
	v_lshlrev_b32_e32 v3, 3, v3
	v_and_or_b32 v3, v2, s0, v3
	s_waitcnt vmcnt(0)
	ds_write_b64 v3, v[0:1]
	; wave barrier
	ds_read_b64 v[0:1], v3
	s_waitcnt lgkmcnt(0)
	global_store_dwordx2 v2, v[0:1], s[2:3]
	s_endpgm
	.section	.rodata,"a",@progbits
	.p2align	6, 0x0
	.amdhsa_kernel _Z20warp_exchange_kernelILj1024ELj1ELj32ELN6hipcub21WarpExchangeAlgorithmE0E18StripedToBlockedOpdEvPT4_S4_
		.amdhsa_group_segment_fixed_size 8192
		.amdhsa_private_segment_fixed_size 0
		.amdhsa_kernarg_size 16
		.amdhsa_user_sgpr_count 6
		.amdhsa_user_sgpr_private_segment_buffer 1
		.amdhsa_user_sgpr_dispatch_ptr 0
		.amdhsa_user_sgpr_queue_ptr 0
		.amdhsa_user_sgpr_kernarg_segment_ptr 1
		.amdhsa_user_sgpr_dispatch_id 0
		.amdhsa_user_sgpr_flat_scratch_init 0
		.amdhsa_user_sgpr_kernarg_preload_length 0
		.amdhsa_user_sgpr_kernarg_preload_offset 0
		.amdhsa_user_sgpr_private_segment_size 0
		.amdhsa_uses_dynamic_stack 0
		.amdhsa_system_sgpr_private_segment_wavefront_offset 0
		.amdhsa_system_sgpr_workgroup_id_x 1
		.amdhsa_system_sgpr_workgroup_id_y 0
		.amdhsa_system_sgpr_workgroup_id_z 0
		.amdhsa_system_sgpr_workgroup_info 0
		.amdhsa_system_vgpr_workitem_id 0
		.amdhsa_next_free_vgpr 4
		.amdhsa_next_free_sgpr 6
		.amdhsa_accum_offset 4
		.amdhsa_reserve_vcc 0
		.amdhsa_reserve_flat_scratch 0
		.amdhsa_float_round_mode_32 0
		.amdhsa_float_round_mode_16_64 0
		.amdhsa_float_denorm_mode_32 3
		.amdhsa_float_denorm_mode_16_64 3
		.amdhsa_dx10_clamp 1
		.amdhsa_ieee_mode 1
		.amdhsa_fp16_overflow 0
		.amdhsa_tg_split 0
		.amdhsa_exception_fp_ieee_invalid_op 0
		.amdhsa_exception_fp_denorm_src 0
		.amdhsa_exception_fp_ieee_div_zero 0
		.amdhsa_exception_fp_ieee_overflow 0
		.amdhsa_exception_fp_ieee_underflow 0
		.amdhsa_exception_fp_ieee_inexact 0
		.amdhsa_exception_int_div_zero 0
	.end_amdhsa_kernel
	.section	.text._Z20warp_exchange_kernelILj1024ELj1ELj32ELN6hipcub21WarpExchangeAlgorithmE0E18StripedToBlockedOpdEvPT4_S4_,"axG",@progbits,_Z20warp_exchange_kernelILj1024ELj1ELj32ELN6hipcub21WarpExchangeAlgorithmE0E18StripedToBlockedOpdEvPT4_S4_,comdat
.Lfunc_end17:
	.size	_Z20warp_exchange_kernelILj1024ELj1ELj32ELN6hipcub21WarpExchangeAlgorithmE0E18StripedToBlockedOpdEvPT4_S4_, .Lfunc_end17-_Z20warp_exchange_kernelILj1024ELj1ELj32ELN6hipcub21WarpExchangeAlgorithmE0E18StripedToBlockedOpdEvPT4_S4_
                                        ; -- End function
	.section	.AMDGPU.csdata,"",@progbits
; Kernel info:
; codeLenInByte = 96
; NumSgprs: 10
; NumVgprs: 4
; NumAgprs: 0
; TotalNumVgprs: 4
; ScratchSize: 0
; MemoryBound: 0
; FloatMode: 240
; IeeeMode: 1
; LDSByteSize: 8192 bytes/workgroup (compile time only)
; SGPRBlocks: 1
; VGPRBlocks: 0
; NumSGPRsForWavesPerEU: 10
; NumVGPRsForWavesPerEU: 4
; AccumOffset: 4
; Occupancy: 8
; WaveLimiterHint : 0
; COMPUTE_PGM_RSRC2:SCRATCH_EN: 0
; COMPUTE_PGM_RSRC2:USER_SGPR: 6
; COMPUTE_PGM_RSRC2:TRAP_HANDLER: 0
; COMPUTE_PGM_RSRC2:TGID_X_EN: 1
; COMPUTE_PGM_RSRC2:TGID_Y_EN: 0
; COMPUTE_PGM_RSRC2:TGID_Z_EN: 0
; COMPUTE_PGM_RSRC2:TIDIG_COMP_CNT: 0
; COMPUTE_PGM_RSRC3_GFX90A:ACCUM_OFFSET: 0
; COMPUTE_PGM_RSRC3_GFX90A:TG_SPLIT: 0
	.section	.text._Z20warp_exchange_kernelILj1024ELj5ELj16ELN6hipcub21WarpExchangeAlgorithmE0E18StripedToBlockedOpdEvPT4_S4_,"axG",@progbits,_Z20warp_exchange_kernelILj1024ELj5ELj16ELN6hipcub21WarpExchangeAlgorithmE0E18StripedToBlockedOpdEvPT4_S4_,comdat
	.protected	_Z20warp_exchange_kernelILj1024ELj5ELj16ELN6hipcub21WarpExchangeAlgorithmE0E18StripedToBlockedOpdEvPT4_S4_ ; -- Begin function _Z20warp_exchange_kernelILj1024ELj5ELj16ELN6hipcub21WarpExchangeAlgorithmE0E18StripedToBlockedOpdEvPT4_S4_
	.globl	_Z20warp_exchange_kernelILj1024ELj5ELj16ELN6hipcub21WarpExchangeAlgorithmE0E18StripedToBlockedOpdEvPT4_S4_
	.p2align	8
	.type	_Z20warp_exchange_kernelILj1024ELj5ELj16ELN6hipcub21WarpExchangeAlgorithmE0E18StripedToBlockedOpdEvPT4_S4_,@function
_Z20warp_exchange_kernelILj1024ELj5ELj16ELN6hipcub21WarpExchangeAlgorithmE0E18StripedToBlockedOpdEvPT4_S4_: ; @_Z20warp_exchange_kernelILj1024ELj5ELj16ELN6hipcub21WarpExchangeAlgorithmE0E18StripedToBlockedOpdEvPT4_S4_
; %bb.0:
	s_load_dwordx4 s[0:3], s[4:5], 0x0
	v_mul_u32_u24_e32 v1, 5, v0
	v_lshlrev_b32_e32 v12, 3, v1
	v_mbcnt_lo_u32_b32 v1, -1, 0
	v_lshrrev_b32_e32 v0, 4, v0
	s_waitcnt lgkmcnt(0)
	global_load_dwordx4 v[2:5], v12, s[0:1]
	global_load_dwordx4 v[6:9], v12, s[0:1] offset:16
	global_load_dwordx2 v[10:11], v12, s[0:1] offset:32
	v_mbcnt_hi_u32_b32 v1, -1, v1
	v_mul_u32_u24_e32 v0, 0x280, v0
	v_and_b32_e32 v1, 15, v1
	v_lshl_or_b32 v0, v1, 3, v0
	v_lshl_add_u32 v13, v1, 5, v0
	s_waitcnt vmcnt(2)
	ds_write2_b64 v0, v[2:3], v[4:5] offset1:16
	s_waitcnt vmcnt(1)
	ds_write2_b64 v0, v[6:7], v[8:9] offset0:32 offset1:48
	s_waitcnt vmcnt(0)
	ds_write_b64 v0, v[10:11] offset:512
	; wave barrier
	ds_read2_b64 v[0:3], v13 offset1:1
	ds_read2_b64 v[4:7], v13 offset0:2 offset1:3
	ds_read_b64 v[8:9], v13 offset:32
	s_waitcnt lgkmcnt(2)
	global_store_dwordx4 v12, v[0:3], s[2:3]
	s_waitcnt lgkmcnt(1)
	global_store_dwordx4 v12, v[4:7], s[2:3] offset:16
	s_waitcnt lgkmcnt(0)
	global_store_dwordx2 v12, v[8:9], s[2:3] offset:32
	s_endpgm
	.section	.rodata,"a",@progbits
	.p2align	6, 0x0
	.amdhsa_kernel _Z20warp_exchange_kernelILj1024ELj5ELj16ELN6hipcub21WarpExchangeAlgorithmE0E18StripedToBlockedOpdEvPT4_S4_
		.amdhsa_group_segment_fixed_size 40960
		.amdhsa_private_segment_fixed_size 0
		.amdhsa_kernarg_size 16
		.amdhsa_user_sgpr_count 6
		.amdhsa_user_sgpr_private_segment_buffer 1
		.amdhsa_user_sgpr_dispatch_ptr 0
		.amdhsa_user_sgpr_queue_ptr 0
		.amdhsa_user_sgpr_kernarg_segment_ptr 1
		.amdhsa_user_sgpr_dispatch_id 0
		.amdhsa_user_sgpr_flat_scratch_init 0
		.amdhsa_user_sgpr_kernarg_preload_length 0
		.amdhsa_user_sgpr_kernarg_preload_offset 0
		.amdhsa_user_sgpr_private_segment_size 0
		.amdhsa_uses_dynamic_stack 0
		.amdhsa_system_sgpr_private_segment_wavefront_offset 0
		.amdhsa_system_sgpr_workgroup_id_x 1
		.amdhsa_system_sgpr_workgroup_id_y 0
		.amdhsa_system_sgpr_workgroup_id_z 0
		.amdhsa_system_sgpr_workgroup_info 0
		.amdhsa_system_vgpr_workitem_id 0
		.amdhsa_next_free_vgpr 14
		.amdhsa_next_free_sgpr 6
		.amdhsa_accum_offset 16
		.amdhsa_reserve_vcc 0
		.amdhsa_reserve_flat_scratch 0
		.amdhsa_float_round_mode_32 0
		.amdhsa_float_round_mode_16_64 0
		.amdhsa_float_denorm_mode_32 3
		.amdhsa_float_denorm_mode_16_64 3
		.amdhsa_dx10_clamp 1
		.amdhsa_ieee_mode 1
		.amdhsa_fp16_overflow 0
		.amdhsa_tg_split 0
		.amdhsa_exception_fp_ieee_invalid_op 0
		.amdhsa_exception_fp_denorm_src 0
		.amdhsa_exception_fp_ieee_div_zero 0
		.amdhsa_exception_fp_ieee_overflow 0
		.amdhsa_exception_fp_ieee_underflow 0
		.amdhsa_exception_fp_ieee_inexact 0
		.amdhsa_exception_int_div_zero 0
	.end_amdhsa_kernel
	.section	.text._Z20warp_exchange_kernelILj1024ELj5ELj16ELN6hipcub21WarpExchangeAlgorithmE0E18StripedToBlockedOpdEvPT4_S4_,"axG",@progbits,_Z20warp_exchange_kernelILj1024ELj5ELj16ELN6hipcub21WarpExchangeAlgorithmE0E18StripedToBlockedOpdEvPT4_S4_,comdat
.Lfunc_end18:
	.size	_Z20warp_exchange_kernelILj1024ELj5ELj16ELN6hipcub21WarpExchangeAlgorithmE0E18StripedToBlockedOpdEvPT4_S4_, .Lfunc_end18-_Z20warp_exchange_kernelILj1024ELj5ELj16ELN6hipcub21WarpExchangeAlgorithmE0E18StripedToBlockedOpdEvPT4_S4_
                                        ; -- End function
	.section	.AMDGPU.csdata,"",@progbits
; Kernel info:
; codeLenInByte = 192
; NumSgprs: 10
; NumVgprs: 14
; NumAgprs: 0
; TotalNumVgprs: 14
; ScratchSize: 0
; MemoryBound: 1
; FloatMode: 240
; IeeeMode: 1
; LDSByteSize: 40960 bytes/workgroup (compile time only)
; SGPRBlocks: 1
; VGPRBlocks: 1
; NumSGPRsForWavesPerEU: 10
; NumVGPRsForWavesPerEU: 14
; AccumOffset: 16
; Occupancy: 4
; WaveLimiterHint : 1
; COMPUTE_PGM_RSRC2:SCRATCH_EN: 0
; COMPUTE_PGM_RSRC2:USER_SGPR: 6
; COMPUTE_PGM_RSRC2:TRAP_HANDLER: 0
; COMPUTE_PGM_RSRC2:TGID_X_EN: 1
; COMPUTE_PGM_RSRC2:TGID_Y_EN: 0
; COMPUTE_PGM_RSRC2:TGID_Z_EN: 0
; COMPUTE_PGM_RSRC2:TIDIG_COMP_CNT: 0
; COMPUTE_PGM_RSRC3_GFX90A:ACCUM_OFFSET: 3
; COMPUTE_PGM_RSRC3_GFX90A:TG_SPLIT: 0
	.section	.text._Z20warp_exchange_kernelILj1024ELj4ELj16ELN6hipcub21WarpExchangeAlgorithmE0E18StripedToBlockedOpdEvPT4_S4_,"axG",@progbits,_Z20warp_exchange_kernelILj1024ELj4ELj16ELN6hipcub21WarpExchangeAlgorithmE0E18StripedToBlockedOpdEvPT4_S4_,comdat
	.protected	_Z20warp_exchange_kernelILj1024ELj4ELj16ELN6hipcub21WarpExchangeAlgorithmE0E18StripedToBlockedOpdEvPT4_S4_ ; -- Begin function _Z20warp_exchange_kernelILj1024ELj4ELj16ELN6hipcub21WarpExchangeAlgorithmE0E18StripedToBlockedOpdEvPT4_S4_
	.globl	_Z20warp_exchange_kernelILj1024ELj4ELj16ELN6hipcub21WarpExchangeAlgorithmE0E18StripedToBlockedOpdEvPT4_S4_
	.p2align	8
	.type	_Z20warp_exchange_kernelILj1024ELj4ELj16ELN6hipcub21WarpExchangeAlgorithmE0E18StripedToBlockedOpdEvPT4_S4_,@function
_Z20warp_exchange_kernelILj1024ELj4ELj16ELN6hipcub21WarpExchangeAlgorithmE0E18StripedToBlockedOpdEvPT4_S4_: ; @_Z20warp_exchange_kernelILj1024ELj4ELj16ELN6hipcub21WarpExchangeAlgorithmE0E18StripedToBlockedOpdEvPT4_S4_
; %bb.0:
	s_load_dwordx4 s[0:3], s[4:5], 0x0
	v_lshlrev_b32_e32 v8, 5, v0
	v_mbcnt_lo_u32_b32 v9, -1, 0
	v_mbcnt_hi_u32_b32 v9, -1, v9
	v_and_b32_e32 v9, 15, v9
	s_waitcnt lgkmcnt(0)
	global_load_dwordx4 v[0:3], v8, s[0:1]
	global_load_dwordx4 v[4:7], v8, s[0:1] offset:16
	s_movk_i32 s0, 0x7e00
	v_lshlrev_b32_e32 v10, 3, v9
	v_and_or_b32 v10, v8, s0, v10
	v_mad_u32_u24 v9, v9, 24, v10
	s_waitcnt vmcnt(1)
	ds_write2_b64 v10, v[0:1], v[2:3] offset1:16
	s_waitcnt vmcnt(0)
	ds_write2_b64 v10, v[4:5], v[6:7] offset0:32 offset1:48
	; wave barrier
	ds_read_b128 v[0:3], v9
	ds_read_b128 v[4:7], v9 offset:16
	s_waitcnt lgkmcnt(1)
	global_store_dwordx4 v8, v[0:3], s[2:3]
	s_waitcnt lgkmcnt(0)
	global_store_dwordx4 v8, v[4:7], s[2:3] offset:16
	s_endpgm
	.section	.rodata,"a",@progbits
	.p2align	6, 0x0
	.amdhsa_kernel _Z20warp_exchange_kernelILj1024ELj4ELj16ELN6hipcub21WarpExchangeAlgorithmE0E18StripedToBlockedOpdEvPT4_S4_
		.amdhsa_group_segment_fixed_size 32768
		.amdhsa_private_segment_fixed_size 0
		.amdhsa_kernarg_size 16
		.amdhsa_user_sgpr_count 6
		.amdhsa_user_sgpr_private_segment_buffer 1
		.amdhsa_user_sgpr_dispatch_ptr 0
		.amdhsa_user_sgpr_queue_ptr 0
		.amdhsa_user_sgpr_kernarg_segment_ptr 1
		.amdhsa_user_sgpr_dispatch_id 0
		.amdhsa_user_sgpr_flat_scratch_init 0
		.amdhsa_user_sgpr_kernarg_preload_length 0
		.amdhsa_user_sgpr_kernarg_preload_offset 0
		.amdhsa_user_sgpr_private_segment_size 0
		.amdhsa_uses_dynamic_stack 0
		.amdhsa_system_sgpr_private_segment_wavefront_offset 0
		.amdhsa_system_sgpr_workgroup_id_x 1
		.amdhsa_system_sgpr_workgroup_id_y 0
		.amdhsa_system_sgpr_workgroup_id_z 0
		.amdhsa_system_sgpr_workgroup_info 0
		.amdhsa_system_vgpr_workitem_id 0
		.amdhsa_next_free_vgpr 11
		.amdhsa_next_free_sgpr 6
		.amdhsa_accum_offset 12
		.amdhsa_reserve_vcc 0
		.amdhsa_reserve_flat_scratch 0
		.amdhsa_float_round_mode_32 0
		.amdhsa_float_round_mode_16_64 0
		.amdhsa_float_denorm_mode_32 3
		.amdhsa_float_denorm_mode_16_64 3
		.amdhsa_dx10_clamp 1
		.amdhsa_ieee_mode 1
		.amdhsa_fp16_overflow 0
		.amdhsa_tg_split 0
		.amdhsa_exception_fp_ieee_invalid_op 0
		.amdhsa_exception_fp_denorm_src 0
		.amdhsa_exception_fp_ieee_div_zero 0
		.amdhsa_exception_fp_ieee_overflow 0
		.amdhsa_exception_fp_ieee_underflow 0
		.amdhsa_exception_fp_ieee_inexact 0
		.amdhsa_exception_int_div_zero 0
	.end_amdhsa_kernel
	.section	.text._Z20warp_exchange_kernelILj1024ELj4ELj16ELN6hipcub21WarpExchangeAlgorithmE0E18StripedToBlockedOpdEvPT4_S4_,"axG",@progbits,_Z20warp_exchange_kernelILj1024ELj4ELj16ELN6hipcub21WarpExchangeAlgorithmE0E18StripedToBlockedOpdEvPT4_S4_,comdat
.Lfunc_end19:
	.size	_Z20warp_exchange_kernelILj1024ELj4ELj16ELN6hipcub21WarpExchangeAlgorithmE0E18StripedToBlockedOpdEvPT4_S4_, .Lfunc_end19-_Z20warp_exchange_kernelILj1024ELj4ELj16ELN6hipcub21WarpExchangeAlgorithmE0E18StripedToBlockedOpdEvPT4_S4_
                                        ; -- End function
	.section	.AMDGPU.csdata,"",@progbits
; Kernel info:
; codeLenInByte = 144
; NumSgprs: 10
; NumVgprs: 11
; NumAgprs: 0
; TotalNumVgprs: 11
; ScratchSize: 0
; MemoryBound: 1
; FloatMode: 240
; IeeeMode: 1
; LDSByteSize: 32768 bytes/workgroup (compile time only)
; SGPRBlocks: 1
; VGPRBlocks: 1
; NumSGPRsForWavesPerEU: 10
; NumVGPRsForWavesPerEU: 11
; AccumOffset: 12
; Occupancy: 8
; WaveLimiterHint : 1
; COMPUTE_PGM_RSRC2:SCRATCH_EN: 0
; COMPUTE_PGM_RSRC2:USER_SGPR: 6
; COMPUTE_PGM_RSRC2:TRAP_HANDLER: 0
; COMPUTE_PGM_RSRC2:TGID_X_EN: 1
; COMPUTE_PGM_RSRC2:TGID_Y_EN: 0
; COMPUTE_PGM_RSRC2:TGID_Z_EN: 0
; COMPUTE_PGM_RSRC2:TIDIG_COMP_CNT: 0
; COMPUTE_PGM_RSRC3_GFX90A:ACCUM_OFFSET: 2
; COMPUTE_PGM_RSRC3_GFX90A:TG_SPLIT: 0
	.section	.text._Z20warp_exchange_kernelILj1024ELj1ELj16ELN6hipcub21WarpExchangeAlgorithmE0E18StripedToBlockedOpdEvPT4_S4_,"axG",@progbits,_Z20warp_exchange_kernelILj1024ELj1ELj16ELN6hipcub21WarpExchangeAlgorithmE0E18StripedToBlockedOpdEvPT4_S4_,comdat
	.protected	_Z20warp_exchange_kernelILj1024ELj1ELj16ELN6hipcub21WarpExchangeAlgorithmE0E18StripedToBlockedOpdEvPT4_S4_ ; -- Begin function _Z20warp_exchange_kernelILj1024ELj1ELj16ELN6hipcub21WarpExchangeAlgorithmE0E18StripedToBlockedOpdEvPT4_S4_
	.globl	_Z20warp_exchange_kernelILj1024ELj1ELj16ELN6hipcub21WarpExchangeAlgorithmE0E18StripedToBlockedOpdEvPT4_S4_
	.p2align	8
	.type	_Z20warp_exchange_kernelILj1024ELj1ELj16ELN6hipcub21WarpExchangeAlgorithmE0E18StripedToBlockedOpdEvPT4_S4_,@function
_Z20warp_exchange_kernelILj1024ELj1ELj16ELN6hipcub21WarpExchangeAlgorithmE0E18StripedToBlockedOpdEvPT4_S4_: ; @_Z20warp_exchange_kernelILj1024ELj1ELj16ELN6hipcub21WarpExchangeAlgorithmE0E18StripedToBlockedOpdEvPT4_S4_
; %bb.0:
	s_load_dwordx4 s[0:3], s[4:5], 0x0
	v_lshlrev_b32_e32 v2, 3, v0
	v_mbcnt_lo_u32_b32 v3, -1, 0
	v_mbcnt_hi_u32_b32 v3, -1, v3
	v_and_b32_e32 v3, 15, v3
	s_waitcnt lgkmcnt(0)
	global_load_dwordx2 v[0:1], v2, s[0:1]
	s_movk_i32 s0, 0x1f80
	v_lshlrev_b32_e32 v3, 3, v3
	v_and_or_b32 v3, v2, s0, v3
	s_waitcnt vmcnt(0)
	ds_write_b64 v3, v[0:1]
	; wave barrier
	ds_read_b64 v[0:1], v3
	s_waitcnt lgkmcnt(0)
	global_store_dwordx2 v2, v[0:1], s[2:3]
	s_endpgm
	.section	.rodata,"a",@progbits
	.p2align	6, 0x0
	.amdhsa_kernel _Z20warp_exchange_kernelILj1024ELj1ELj16ELN6hipcub21WarpExchangeAlgorithmE0E18StripedToBlockedOpdEvPT4_S4_
		.amdhsa_group_segment_fixed_size 8192
		.amdhsa_private_segment_fixed_size 0
		.amdhsa_kernarg_size 16
		.amdhsa_user_sgpr_count 6
		.amdhsa_user_sgpr_private_segment_buffer 1
		.amdhsa_user_sgpr_dispatch_ptr 0
		.amdhsa_user_sgpr_queue_ptr 0
		.amdhsa_user_sgpr_kernarg_segment_ptr 1
		.amdhsa_user_sgpr_dispatch_id 0
		.amdhsa_user_sgpr_flat_scratch_init 0
		.amdhsa_user_sgpr_kernarg_preload_length 0
		.amdhsa_user_sgpr_kernarg_preload_offset 0
		.amdhsa_user_sgpr_private_segment_size 0
		.amdhsa_uses_dynamic_stack 0
		.amdhsa_system_sgpr_private_segment_wavefront_offset 0
		.amdhsa_system_sgpr_workgroup_id_x 1
		.amdhsa_system_sgpr_workgroup_id_y 0
		.amdhsa_system_sgpr_workgroup_id_z 0
		.amdhsa_system_sgpr_workgroup_info 0
		.amdhsa_system_vgpr_workitem_id 0
		.amdhsa_next_free_vgpr 4
		.amdhsa_next_free_sgpr 6
		.amdhsa_accum_offset 4
		.amdhsa_reserve_vcc 0
		.amdhsa_reserve_flat_scratch 0
		.amdhsa_float_round_mode_32 0
		.amdhsa_float_round_mode_16_64 0
		.amdhsa_float_denorm_mode_32 3
		.amdhsa_float_denorm_mode_16_64 3
		.amdhsa_dx10_clamp 1
		.amdhsa_ieee_mode 1
		.amdhsa_fp16_overflow 0
		.amdhsa_tg_split 0
		.amdhsa_exception_fp_ieee_invalid_op 0
		.amdhsa_exception_fp_denorm_src 0
		.amdhsa_exception_fp_ieee_div_zero 0
		.amdhsa_exception_fp_ieee_overflow 0
		.amdhsa_exception_fp_ieee_underflow 0
		.amdhsa_exception_fp_ieee_inexact 0
		.amdhsa_exception_int_div_zero 0
	.end_amdhsa_kernel
	.section	.text._Z20warp_exchange_kernelILj1024ELj1ELj16ELN6hipcub21WarpExchangeAlgorithmE0E18StripedToBlockedOpdEvPT4_S4_,"axG",@progbits,_Z20warp_exchange_kernelILj1024ELj1ELj16ELN6hipcub21WarpExchangeAlgorithmE0E18StripedToBlockedOpdEvPT4_S4_,comdat
.Lfunc_end20:
	.size	_Z20warp_exchange_kernelILj1024ELj1ELj16ELN6hipcub21WarpExchangeAlgorithmE0E18StripedToBlockedOpdEvPT4_S4_, .Lfunc_end20-_Z20warp_exchange_kernelILj1024ELj1ELj16ELN6hipcub21WarpExchangeAlgorithmE0E18StripedToBlockedOpdEvPT4_S4_
                                        ; -- End function
	.section	.AMDGPU.csdata,"",@progbits
; Kernel info:
; codeLenInByte = 96
; NumSgprs: 10
; NumVgprs: 4
; NumAgprs: 0
; TotalNumVgprs: 4
; ScratchSize: 0
; MemoryBound: 0
; FloatMode: 240
; IeeeMode: 1
; LDSByteSize: 8192 bytes/workgroup (compile time only)
; SGPRBlocks: 1
; VGPRBlocks: 0
; NumSGPRsForWavesPerEU: 10
; NumVGPRsForWavesPerEU: 4
; AccumOffset: 4
; Occupancy: 8
; WaveLimiterHint : 0
; COMPUTE_PGM_RSRC2:SCRATCH_EN: 0
; COMPUTE_PGM_RSRC2:USER_SGPR: 6
; COMPUTE_PGM_RSRC2:TRAP_HANDLER: 0
; COMPUTE_PGM_RSRC2:TGID_X_EN: 1
; COMPUTE_PGM_RSRC2:TGID_Y_EN: 0
; COMPUTE_PGM_RSRC2:TGID_Z_EN: 0
; COMPUTE_PGM_RSRC2:TIDIG_COMP_CNT: 0
; COMPUTE_PGM_RSRC3_GFX90A:ACCUM_OFFSET: 0
; COMPUTE_PGM_RSRC3_GFX90A:TG_SPLIT: 0
	.section	.text._Z20warp_exchange_kernelILj1024ELj5ELj8ELN6hipcub21WarpExchangeAlgorithmE0E18StripedToBlockedOpdEvPT4_S4_,"axG",@progbits,_Z20warp_exchange_kernelILj1024ELj5ELj8ELN6hipcub21WarpExchangeAlgorithmE0E18StripedToBlockedOpdEvPT4_S4_,comdat
	.protected	_Z20warp_exchange_kernelILj1024ELj5ELj8ELN6hipcub21WarpExchangeAlgorithmE0E18StripedToBlockedOpdEvPT4_S4_ ; -- Begin function _Z20warp_exchange_kernelILj1024ELj5ELj8ELN6hipcub21WarpExchangeAlgorithmE0E18StripedToBlockedOpdEvPT4_S4_
	.globl	_Z20warp_exchange_kernelILj1024ELj5ELj8ELN6hipcub21WarpExchangeAlgorithmE0E18StripedToBlockedOpdEvPT4_S4_
	.p2align	8
	.type	_Z20warp_exchange_kernelILj1024ELj5ELj8ELN6hipcub21WarpExchangeAlgorithmE0E18StripedToBlockedOpdEvPT4_S4_,@function
_Z20warp_exchange_kernelILj1024ELj5ELj8ELN6hipcub21WarpExchangeAlgorithmE0E18StripedToBlockedOpdEvPT4_S4_: ; @_Z20warp_exchange_kernelILj1024ELj5ELj8ELN6hipcub21WarpExchangeAlgorithmE0E18StripedToBlockedOpdEvPT4_S4_
; %bb.0:
	s_load_dwordx4 s[0:3], s[4:5], 0x0
	v_mul_u32_u24_e32 v1, 5, v0
	v_lshlrev_b32_e32 v12, 3, v1
	v_mbcnt_lo_u32_b32 v1, -1, 0
	v_lshrrev_b32_e32 v0, 3, v0
	s_waitcnt lgkmcnt(0)
	global_load_dwordx4 v[2:5], v12, s[0:1]
	global_load_dwordx4 v[6:9], v12, s[0:1] offset:16
	global_load_dwordx2 v[10:11], v12, s[0:1] offset:32
	v_mbcnt_hi_u32_b32 v1, -1, v1
	v_mul_u32_u24_e32 v0, 0x140, v0
	v_and_b32_e32 v1, 7, v1
	v_lshl_or_b32 v0, v1, 3, v0
	v_lshl_add_u32 v13, v1, 5, v0
	s_waitcnt vmcnt(2)
	ds_write2_b64 v0, v[2:3], v[4:5] offset1:8
	s_waitcnt vmcnt(1)
	ds_write2_b64 v0, v[6:7], v[8:9] offset0:16 offset1:24
	s_waitcnt vmcnt(0)
	ds_write_b64 v0, v[10:11] offset:256
	; wave barrier
	ds_read2_b64 v[0:3], v13 offset1:1
	ds_read2_b64 v[4:7], v13 offset0:2 offset1:3
	ds_read_b64 v[8:9], v13 offset:32
	s_waitcnt lgkmcnt(2)
	global_store_dwordx4 v12, v[0:3], s[2:3]
	s_waitcnt lgkmcnt(1)
	global_store_dwordx4 v12, v[4:7], s[2:3] offset:16
	s_waitcnt lgkmcnt(0)
	global_store_dwordx2 v12, v[8:9], s[2:3] offset:32
	s_endpgm
	.section	.rodata,"a",@progbits
	.p2align	6, 0x0
	.amdhsa_kernel _Z20warp_exchange_kernelILj1024ELj5ELj8ELN6hipcub21WarpExchangeAlgorithmE0E18StripedToBlockedOpdEvPT4_S4_
		.amdhsa_group_segment_fixed_size 40960
		.amdhsa_private_segment_fixed_size 0
		.amdhsa_kernarg_size 16
		.amdhsa_user_sgpr_count 6
		.amdhsa_user_sgpr_private_segment_buffer 1
		.amdhsa_user_sgpr_dispatch_ptr 0
		.amdhsa_user_sgpr_queue_ptr 0
		.amdhsa_user_sgpr_kernarg_segment_ptr 1
		.amdhsa_user_sgpr_dispatch_id 0
		.amdhsa_user_sgpr_flat_scratch_init 0
		.amdhsa_user_sgpr_kernarg_preload_length 0
		.amdhsa_user_sgpr_kernarg_preload_offset 0
		.amdhsa_user_sgpr_private_segment_size 0
		.amdhsa_uses_dynamic_stack 0
		.amdhsa_system_sgpr_private_segment_wavefront_offset 0
		.amdhsa_system_sgpr_workgroup_id_x 1
		.amdhsa_system_sgpr_workgroup_id_y 0
		.amdhsa_system_sgpr_workgroup_id_z 0
		.amdhsa_system_sgpr_workgroup_info 0
		.amdhsa_system_vgpr_workitem_id 0
		.amdhsa_next_free_vgpr 14
		.amdhsa_next_free_sgpr 6
		.amdhsa_accum_offset 16
		.amdhsa_reserve_vcc 0
		.amdhsa_reserve_flat_scratch 0
		.amdhsa_float_round_mode_32 0
		.amdhsa_float_round_mode_16_64 0
		.amdhsa_float_denorm_mode_32 3
		.amdhsa_float_denorm_mode_16_64 3
		.amdhsa_dx10_clamp 1
		.amdhsa_ieee_mode 1
		.amdhsa_fp16_overflow 0
		.amdhsa_tg_split 0
		.amdhsa_exception_fp_ieee_invalid_op 0
		.amdhsa_exception_fp_denorm_src 0
		.amdhsa_exception_fp_ieee_div_zero 0
		.amdhsa_exception_fp_ieee_overflow 0
		.amdhsa_exception_fp_ieee_underflow 0
		.amdhsa_exception_fp_ieee_inexact 0
		.amdhsa_exception_int_div_zero 0
	.end_amdhsa_kernel
	.section	.text._Z20warp_exchange_kernelILj1024ELj5ELj8ELN6hipcub21WarpExchangeAlgorithmE0E18StripedToBlockedOpdEvPT4_S4_,"axG",@progbits,_Z20warp_exchange_kernelILj1024ELj5ELj8ELN6hipcub21WarpExchangeAlgorithmE0E18StripedToBlockedOpdEvPT4_S4_,comdat
.Lfunc_end21:
	.size	_Z20warp_exchange_kernelILj1024ELj5ELj8ELN6hipcub21WarpExchangeAlgorithmE0E18StripedToBlockedOpdEvPT4_S4_, .Lfunc_end21-_Z20warp_exchange_kernelILj1024ELj5ELj8ELN6hipcub21WarpExchangeAlgorithmE0E18StripedToBlockedOpdEvPT4_S4_
                                        ; -- End function
	.section	.AMDGPU.csdata,"",@progbits
; Kernel info:
; codeLenInByte = 192
; NumSgprs: 10
; NumVgprs: 14
; NumAgprs: 0
; TotalNumVgprs: 14
; ScratchSize: 0
; MemoryBound: 1
; FloatMode: 240
; IeeeMode: 1
; LDSByteSize: 40960 bytes/workgroup (compile time only)
; SGPRBlocks: 1
; VGPRBlocks: 1
; NumSGPRsForWavesPerEU: 10
; NumVGPRsForWavesPerEU: 14
; AccumOffset: 16
; Occupancy: 4
; WaveLimiterHint : 1
; COMPUTE_PGM_RSRC2:SCRATCH_EN: 0
; COMPUTE_PGM_RSRC2:USER_SGPR: 6
; COMPUTE_PGM_RSRC2:TRAP_HANDLER: 0
; COMPUTE_PGM_RSRC2:TGID_X_EN: 1
; COMPUTE_PGM_RSRC2:TGID_Y_EN: 0
; COMPUTE_PGM_RSRC2:TGID_Z_EN: 0
; COMPUTE_PGM_RSRC2:TIDIG_COMP_CNT: 0
; COMPUTE_PGM_RSRC3_GFX90A:ACCUM_OFFSET: 3
; COMPUTE_PGM_RSRC3_GFX90A:TG_SPLIT: 0
	.section	.text._Z20warp_exchange_kernelILj1024ELj4ELj8ELN6hipcub21WarpExchangeAlgorithmE0E18StripedToBlockedOpdEvPT4_S4_,"axG",@progbits,_Z20warp_exchange_kernelILj1024ELj4ELj8ELN6hipcub21WarpExchangeAlgorithmE0E18StripedToBlockedOpdEvPT4_S4_,comdat
	.protected	_Z20warp_exchange_kernelILj1024ELj4ELj8ELN6hipcub21WarpExchangeAlgorithmE0E18StripedToBlockedOpdEvPT4_S4_ ; -- Begin function _Z20warp_exchange_kernelILj1024ELj4ELj8ELN6hipcub21WarpExchangeAlgorithmE0E18StripedToBlockedOpdEvPT4_S4_
	.globl	_Z20warp_exchange_kernelILj1024ELj4ELj8ELN6hipcub21WarpExchangeAlgorithmE0E18StripedToBlockedOpdEvPT4_S4_
	.p2align	8
	.type	_Z20warp_exchange_kernelILj1024ELj4ELj8ELN6hipcub21WarpExchangeAlgorithmE0E18StripedToBlockedOpdEvPT4_S4_,@function
_Z20warp_exchange_kernelILj1024ELj4ELj8ELN6hipcub21WarpExchangeAlgorithmE0E18StripedToBlockedOpdEvPT4_S4_: ; @_Z20warp_exchange_kernelILj1024ELj4ELj8ELN6hipcub21WarpExchangeAlgorithmE0E18StripedToBlockedOpdEvPT4_S4_
; %bb.0:
	s_load_dwordx4 s[0:3], s[4:5], 0x0
	v_lshlrev_b32_e32 v8, 5, v0
	v_mbcnt_lo_u32_b32 v9, -1, 0
	v_mbcnt_hi_u32_b32 v9, -1, v9
	v_and_b32_e32 v9, 7, v9
	s_waitcnt lgkmcnt(0)
	global_load_dwordx4 v[0:3], v8, s[0:1]
	global_load_dwordx4 v[4:7], v8, s[0:1] offset:16
	s_movk_i32 s0, 0x7f00
	v_lshlrev_b32_e32 v10, 3, v9
	v_and_or_b32 v10, v8, s0, v10
	v_mad_u32_u24 v9, v9, 24, v10
	s_waitcnt vmcnt(1)
	ds_write2_b64 v10, v[0:1], v[2:3] offset1:8
	s_waitcnt vmcnt(0)
	ds_write2_b64 v10, v[4:5], v[6:7] offset0:16 offset1:24
	; wave barrier
	ds_read_b128 v[0:3], v9
	ds_read_b128 v[4:7], v9 offset:16
	s_waitcnt lgkmcnt(1)
	global_store_dwordx4 v8, v[0:3], s[2:3]
	s_waitcnt lgkmcnt(0)
	global_store_dwordx4 v8, v[4:7], s[2:3] offset:16
	s_endpgm
	.section	.rodata,"a",@progbits
	.p2align	6, 0x0
	.amdhsa_kernel _Z20warp_exchange_kernelILj1024ELj4ELj8ELN6hipcub21WarpExchangeAlgorithmE0E18StripedToBlockedOpdEvPT4_S4_
		.amdhsa_group_segment_fixed_size 32768
		.amdhsa_private_segment_fixed_size 0
		.amdhsa_kernarg_size 16
		.amdhsa_user_sgpr_count 6
		.amdhsa_user_sgpr_private_segment_buffer 1
		.amdhsa_user_sgpr_dispatch_ptr 0
		.amdhsa_user_sgpr_queue_ptr 0
		.amdhsa_user_sgpr_kernarg_segment_ptr 1
		.amdhsa_user_sgpr_dispatch_id 0
		.amdhsa_user_sgpr_flat_scratch_init 0
		.amdhsa_user_sgpr_kernarg_preload_length 0
		.amdhsa_user_sgpr_kernarg_preload_offset 0
		.amdhsa_user_sgpr_private_segment_size 0
		.amdhsa_uses_dynamic_stack 0
		.amdhsa_system_sgpr_private_segment_wavefront_offset 0
		.amdhsa_system_sgpr_workgroup_id_x 1
		.amdhsa_system_sgpr_workgroup_id_y 0
		.amdhsa_system_sgpr_workgroup_id_z 0
		.amdhsa_system_sgpr_workgroup_info 0
		.amdhsa_system_vgpr_workitem_id 0
		.amdhsa_next_free_vgpr 11
		.amdhsa_next_free_sgpr 6
		.amdhsa_accum_offset 12
		.amdhsa_reserve_vcc 0
		.amdhsa_reserve_flat_scratch 0
		.amdhsa_float_round_mode_32 0
		.amdhsa_float_round_mode_16_64 0
		.amdhsa_float_denorm_mode_32 3
		.amdhsa_float_denorm_mode_16_64 3
		.amdhsa_dx10_clamp 1
		.amdhsa_ieee_mode 1
		.amdhsa_fp16_overflow 0
		.amdhsa_tg_split 0
		.amdhsa_exception_fp_ieee_invalid_op 0
		.amdhsa_exception_fp_denorm_src 0
		.amdhsa_exception_fp_ieee_div_zero 0
		.amdhsa_exception_fp_ieee_overflow 0
		.amdhsa_exception_fp_ieee_underflow 0
		.amdhsa_exception_fp_ieee_inexact 0
		.amdhsa_exception_int_div_zero 0
	.end_amdhsa_kernel
	.section	.text._Z20warp_exchange_kernelILj1024ELj4ELj8ELN6hipcub21WarpExchangeAlgorithmE0E18StripedToBlockedOpdEvPT4_S4_,"axG",@progbits,_Z20warp_exchange_kernelILj1024ELj4ELj8ELN6hipcub21WarpExchangeAlgorithmE0E18StripedToBlockedOpdEvPT4_S4_,comdat
.Lfunc_end22:
	.size	_Z20warp_exchange_kernelILj1024ELj4ELj8ELN6hipcub21WarpExchangeAlgorithmE0E18StripedToBlockedOpdEvPT4_S4_, .Lfunc_end22-_Z20warp_exchange_kernelILj1024ELj4ELj8ELN6hipcub21WarpExchangeAlgorithmE0E18StripedToBlockedOpdEvPT4_S4_
                                        ; -- End function
	.section	.AMDGPU.csdata,"",@progbits
; Kernel info:
; codeLenInByte = 144
; NumSgprs: 10
; NumVgprs: 11
; NumAgprs: 0
; TotalNumVgprs: 11
; ScratchSize: 0
; MemoryBound: 1
; FloatMode: 240
; IeeeMode: 1
; LDSByteSize: 32768 bytes/workgroup (compile time only)
; SGPRBlocks: 1
; VGPRBlocks: 1
; NumSGPRsForWavesPerEU: 10
; NumVGPRsForWavesPerEU: 11
; AccumOffset: 12
; Occupancy: 8
; WaveLimiterHint : 1
; COMPUTE_PGM_RSRC2:SCRATCH_EN: 0
; COMPUTE_PGM_RSRC2:USER_SGPR: 6
; COMPUTE_PGM_RSRC2:TRAP_HANDLER: 0
; COMPUTE_PGM_RSRC2:TGID_X_EN: 1
; COMPUTE_PGM_RSRC2:TGID_Y_EN: 0
; COMPUTE_PGM_RSRC2:TGID_Z_EN: 0
; COMPUTE_PGM_RSRC2:TIDIG_COMP_CNT: 0
; COMPUTE_PGM_RSRC3_GFX90A:ACCUM_OFFSET: 2
; COMPUTE_PGM_RSRC3_GFX90A:TG_SPLIT: 0
	.section	.text._Z20warp_exchange_kernelILj1024ELj1ELj8ELN6hipcub21WarpExchangeAlgorithmE0E18StripedToBlockedOpdEvPT4_S4_,"axG",@progbits,_Z20warp_exchange_kernelILj1024ELj1ELj8ELN6hipcub21WarpExchangeAlgorithmE0E18StripedToBlockedOpdEvPT4_S4_,comdat
	.protected	_Z20warp_exchange_kernelILj1024ELj1ELj8ELN6hipcub21WarpExchangeAlgorithmE0E18StripedToBlockedOpdEvPT4_S4_ ; -- Begin function _Z20warp_exchange_kernelILj1024ELj1ELj8ELN6hipcub21WarpExchangeAlgorithmE0E18StripedToBlockedOpdEvPT4_S4_
	.globl	_Z20warp_exchange_kernelILj1024ELj1ELj8ELN6hipcub21WarpExchangeAlgorithmE0E18StripedToBlockedOpdEvPT4_S4_
	.p2align	8
	.type	_Z20warp_exchange_kernelILj1024ELj1ELj8ELN6hipcub21WarpExchangeAlgorithmE0E18StripedToBlockedOpdEvPT4_S4_,@function
_Z20warp_exchange_kernelILj1024ELj1ELj8ELN6hipcub21WarpExchangeAlgorithmE0E18StripedToBlockedOpdEvPT4_S4_: ; @_Z20warp_exchange_kernelILj1024ELj1ELj8ELN6hipcub21WarpExchangeAlgorithmE0E18StripedToBlockedOpdEvPT4_S4_
; %bb.0:
	s_load_dwordx4 s[0:3], s[4:5], 0x0
	v_lshlrev_b32_e32 v2, 3, v0
	v_mbcnt_lo_u32_b32 v3, -1, 0
	v_mbcnt_hi_u32_b32 v3, -1, v3
	v_and_b32_e32 v3, 7, v3
	s_waitcnt lgkmcnt(0)
	global_load_dwordx2 v[0:1], v2, s[0:1]
	s_movk_i32 s0, 0x1fc0
	v_lshlrev_b32_e32 v3, 3, v3
	v_and_or_b32 v3, v2, s0, v3
	s_waitcnt vmcnt(0)
	ds_write_b64 v3, v[0:1]
	; wave barrier
	ds_read_b64 v[0:1], v3
	s_waitcnt lgkmcnt(0)
	global_store_dwordx2 v2, v[0:1], s[2:3]
	s_endpgm
	.section	.rodata,"a",@progbits
	.p2align	6, 0x0
	.amdhsa_kernel _Z20warp_exchange_kernelILj1024ELj1ELj8ELN6hipcub21WarpExchangeAlgorithmE0E18StripedToBlockedOpdEvPT4_S4_
		.amdhsa_group_segment_fixed_size 8192
		.amdhsa_private_segment_fixed_size 0
		.amdhsa_kernarg_size 16
		.amdhsa_user_sgpr_count 6
		.amdhsa_user_sgpr_private_segment_buffer 1
		.amdhsa_user_sgpr_dispatch_ptr 0
		.amdhsa_user_sgpr_queue_ptr 0
		.amdhsa_user_sgpr_kernarg_segment_ptr 1
		.amdhsa_user_sgpr_dispatch_id 0
		.amdhsa_user_sgpr_flat_scratch_init 0
		.amdhsa_user_sgpr_kernarg_preload_length 0
		.amdhsa_user_sgpr_kernarg_preload_offset 0
		.amdhsa_user_sgpr_private_segment_size 0
		.amdhsa_uses_dynamic_stack 0
		.amdhsa_system_sgpr_private_segment_wavefront_offset 0
		.amdhsa_system_sgpr_workgroup_id_x 1
		.amdhsa_system_sgpr_workgroup_id_y 0
		.amdhsa_system_sgpr_workgroup_id_z 0
		.amdhsa_system_sgpr_workgroup_info 0
		.amdhsa_system_vgpr_workitem_id 0
		.amdhsa_next_free_vgpr 4
		.amdhsa_next_free_sgpr 6
		.amdhsa_accum_offset 4
		.amdhsa_reserve_vcc 0
		.amdhsa_reserve_flat_scratch 0
		.amdhsa_float_round_mode_32 0
		.amdhsa_float_round_mode_16_64 0
		.amdhsa_float_denorm_mode_32 3
		.amdhsa_float_denorm_mode_16_64 3
		.amdhsa_dx10_clamp 1
		.amdhsa_ieee_mode 1
		.amdhsa_fp16_overflow 0
		.amdhsa_tg_split 0
		.amdhsa_exception_fp_ieee_invalid_op 0
		.amdhsa_exception_fp_denorm_src 0
		.amdhsa_exception_fp_ieee_div_zero 0
		.amdhsa_exception_fp_ieee_overflow 0
		.amdhsa_exception_fp_ieee_underflow 0
		.amdhsa_exception_fp_ieee_inexact 0
		.amdhsa_exception_int_div_zero 0
	.end_amdhsa_kernel
	.section	.text._Z20warp_exchange_kernelILj1024ELj1ELj8ELN6hipcub21WarpExchangeAlgorithmE0E18StripedToBlockedOpdEvPT4_S4_,"axG",@progbits,_Z20warp_exchange_kernelILj1024ELj1ELj8ELN6hipcub21WarpExchangeAlgorithmE0E18StripedToBlockedOpdEvPT4_S4_,comdat
.Lfunc_end23:
	.size	_Z20warp_exchange_kernelILj1024ELj1ELj8ELN6hipcub21WarpExchangeAlgorithmE0E18StripedToBlockedOpdEvPT4_S4_, .Lfunc_end23-_Z20warp_exchange_kernelILj1024ELj1ELj8ELN6hipcub21WarpExchangeAlgorithmE0E18StripedToBlockedOpdEvPT4_S4_
                                        ; -- End function
	.section	.AMDGPU.csdata,"",@progbits
; Kernel info:
; codeLenInByte = 96
; NumSgprs: 10
; NumVgprs: 4
; NumAgprs: 0
; TotalNumVgprs: 4
; ScratchSize: 0
; MemoryBound: 0
; FloatMode: 240
; IeeeMode: 1
; LDSByteSize: 8192 bytes/workgroup (compile time only)
; SGPRBlocks: 1
; VGPRBlocks: 0
; NumSGPRsForWavesPerEU: 10
; NumVGPRsForWavesPerEU: 4
; AccumOffset: 4
; Occupancy: 8
; WaveLimiterHint : 0
; COMPUTE_PGM_RSRC2:SCRATCH_EN: 0
; COMPUTE_PGM_RSRC2:USER_SGPR: 6
; COMPUTE_PGM_RSRC2:TRAP_HANDLER: 0
; COMPUTE_PGM_RSRC2:TGID_X_EN: 1
; COMPUTE_PGM_RSRC2:TGID_Y_EN: 0
; COMPUTE_PGM_RSRC2:TGID_Z_EN: 0
; COMPUTE_PGM_RSRC2:TIDIG_COMP_CNT: 0
; COMPUTE_PGM_RSRC3_GFX90A:ACCUM_OFFSET: 0
; COMPUTE_PGM_RSRC3_GFX90A:TG_SPLIT: 0
	.section	.text._Z20warp_exchange_kernelILj1024ELj5ELj64ELN6hipcub21WarpExchangeAlgorithmE0E18StripedToBlockedOpiEvPT4_S4_,"axG",@progbits,_Z20warp_exchange_kernelILj1024ELj5ELj64ELN6hipcub21WarpExchangeAlgorithmE0E18StripedToBlockedOpiEvPT4_S4_,comdat
	.protected	_Z20warp_exchange_kernelILj1024ELj5ELj64ELN6hipcub21WarpExchangeAlgorithmE0E18StripedToBlockedOpiEvPT4_S4_ ; -- Begin function _Z20warp_exchange_kernelILj1024ELj5ELj64ELN6hipcub21WarpExchangeAlgorithmE0E18StripedToBlockedOpiEvPT4_S4_
	.globl	_Z20warp_exchange_kernelILj1024ELj5ELj64ELN6hipcub21WarpExchangeAlgorithmE0E18StripedToBlockedOpiEvPT4_S4_
	.p2align	8
	.type	_Z20warp_exchange_kernelILj1024ELj5ELj64ELN6hipcub21WarpExchangeAlgorithmE0E18StripedToBlockedOpiEvPT4_S4_,@function
_Z20warp_exchange_kernelILj1024ELj5ELj64ELN6hipcub21WarpExchangeAlgorithmE0E18StripedToBlockedOpiEvPT4_S4_: ; @_Z20warp_exchange_kernelILj1024ELj5ELj64ELN6hipcub21WarpExchangeAlgorithmE0E18StripedToBlockedOpiEvPT4_S4_
; %bb.0:
	s_load_dwordx4 s[0:3], s[4:5], 0x0
	v_mul_u32_u24_e32 v1, 5, v0
	v_lshlrev_b32_e32 v6, 2, v1
	v_mbcnt_lo_u32_b32 v7, -1, 0
	v_mbcnt_hi_u32_b32 v7, -1, v7
	s_waitcnt lgkmcnt(0)
	global_load_dwordx4 v[2:5], v6, s[0:1]
	global_load_dword v1, v6, s[0:1] offset:16
	s_movk_i32 s0, 0x500
	v_lshrrev_b32_e32 v0, 6, v0
	v_lshlrev_b32_e32 v8, 2, v7
	v_mul_u32_u24_e32 v7, 20, v7
	v_mad_u32_u24 v8, v0, s0, v8
	v_mad_u32_u24 v7, v0, s0, v7
	s_waitcnt vmcnt(1)
	ds_write2st64_b32 v8, v2, v3 offset1:1
	ds_write2st64_b32 v8, v4, v5 offset0:2 offset1:3
	s_waitcnt vmcnt(0)
	ds_write_b32 v8, v1 offset:1024
	; wave barrier
	ds_read2_b32 v[0:1], v7 offset1:1
	ds_read2_b32 v[2:3], v7 offset0:2 offset1:3
	ds_read_b32 v4, v7 offset:16
	s_waitcnt lgkmcnt(1)
	global_store_dwordx4 v6, v[0:3], s[2:3]
	s_waitcnt lgkmcnt(0)
	global_store_dword v6, v4, s[2:3] offset:16
	s_endpgm
	.section	.rodata,"a",@progbits
	.p2align	6, 0x0
	.amdhsa_kernel _Z20warp_exchange_kernelILj1024ELj5ELj64ELN6hipcub21WarpExchangeAlgorithmE0E18StripedToBlockedOpiEvPT4_S4_
		.amdhsa_group_segment_fixed_size 20480
		.amdhsa_private_segment_fixed_size 0
		.amdhsa_kernarg_size 16
		.amdhsa_user_sgpr_count 6
		.amdhsa_user_sgpr_private_segment_buffer 1
		.amdhsa_user_sgpr_dispatch_ptr 0
		.amdhsa_user_sgpr_queue_ptr 0
		.amdhsa_user_sgpr_kernarg_segment_ptr 1
		.amdhsa_user_sgpr_dispatch_id 0
		.amdhsa_user_sgpr_flat_scratch_init 0
		.amdhsa_user_sgpr_kernarg_preload_length 0
		.amdhsa_user_sgpr_kernarg_preload_offset 0
		.amdhsa_user_sgpr_private_segment_size 0
		.amdhsa_uses_dynamic_stack 0
		.amdhsa_system_sgpr_private_segment_wavefront_offset 0
		.amdhsa_system_sgpr_workgroup_id_x 1
		.amdhsa_system_sgpr_workgroup_id_y 0
		.amdhsa_system_sgpr_workgroup_id_z 0
		.amdhsa_system_sgpr_workgroup_info 0
		.amdhsa_system_vgpr_workitem_id 0
		.amdhsa_next_free_vgpr 9
		.amdhsa_next_free_sgpr 6
		.amdhsa_accum_offset 12
		.amdhsa_reserve_vcc 0
		.amdhsa_reserve_flat_scratch 0
		.amdhsa_float_round_mode_32 0
		.amdhsa_float_round_mode_16_64 0
		.amdhsa_float_denorm_mode_32 3
		.amdhsa_float_denorm_mode_16_64 3
		.amdhsa_dx10_clamp 1
		.amdhsa_ieee_mode 1
		.amdhsa_fp16_overflow 0
		.amdhsa_tg_split 0
		.amdhsa_exception_fp_ieee_invalid_op 0
		.amdhsa_exception_fp_denorm_src 0
		.amdhsa_exception_fp_ieee_div_zero 0
		.amdhsa_exception_fp_ieee_overflow 0
		.amdhsa_exception_fp_ieee_underflow 0
		.amdhsa_exception_fp_ieee_inexact 0
		.amdhsa_exception_int_div_zero 0
	.end_amdhsa_kernel
	.section	.text._Z20warp_exchange_kernelILj1024ELj5ELj64ELN6hipcub21WarpExchangeAlgorithmE0E18StripedToBlockedOpiEvPT4_S4_,"axG",@progbits,_Z20warp_exchange_kernelILj1024ELj5ELj64ELN6hipcub21WarpExchangeAlgorithmE0E18StripedToBlockedOpiEvPT4_S4_,comdat
.Lfunc_end24:
	.size	_Z20warp_exchange_kernelILj1024ELj5ELj64ELN6hipcub21WarpExchangeAlgorithmE0E18StripedToBlockedOpiEvPT4_S4_, .Lfunc_end24-_Z20warp_exchange_kernelILj1024ELj5ELj64ELN6hipcub21WarpExchangeAlgorithmE0E18StripedToBlockedOpiEvPT4_S4_
                                        ; -- End function
	.section	.AMDGPU.csdata,"",@progbits
; Kernel info:
; codeLenInByte = 168
; NumSgprs: 10
; NumVgprs: 9
; NumAgprs: 0
; TotalNumVgprs: 9
; ScratchSize: 0
; MemoryBound: 0
; FloatMode: 240
; IeeeMode: 1
; LDSByteSize: 20480 bytes/workgroup (compile time only)
; SGPRBlocks: 1
; VGPRBlocks: 1
; NumSGPRsForWavesPerEU: 10
; NumVGPRsForWavesPerEU: 9
; AccumOffset: 12
; Occupancy: 8
; WaveLimiterHint : 0
; COMPUTE_PGM_RSRC2:SCRATCH_EN: 0
; COMPUTE_PGM_RSRC2:USER_SGPR: 6
; COMPUTE_PGM_RSRC2:TRAP_HANDLER: 0
; COMPUTE_PGM_RSRC2:TGID_X_EN: 1
; COMPUTE_PGM_RSRC2:TGID_Y_EN: 0
; COMPUTE_PGM_RSRC2:TGID_Z_EN: 0
; COMPUTE_PGM_RSRC2:TIDIG_COMP_CNT: 0
; COMPUTE_PGM_RSRC3_GFX90A:ACCUM_OFFSET: 2
; COMPUTE_PGM_RSRC3_GFX90A:TG_SPLIT: 0
	.section	.text._Z20warp_exchange_kernelILj1024ELj4ELj64ELN6hipcub21WarpExchangeAlgorithmE0E18StripedToBlockedOpiEvPT4_S4_,"axG",@progbits,_Z20warp_exchange_kernelILj1024ELj4ELj64ELN6hipcub21WarpExchangeAlgorithmE0E18StripedToBlockedOpiEvPT4_S4_,comdat
	.protected	_Z20warp_exchange_kernelILj1024ELj4ELj64ELN6hipcub21WarpExchangeAlgorithmE0E18StripedToBlockedOpiEvPT4_S4_ ; -- Begin function _Z20warp_exchange_kernelILj1024ELj4ELj64ELN6hipcub21WarpExchangeAlgorithmE0E18StripedToBlockedOpiEvPT4_S4_
	.globl	_Z20warp_exchange_kernelILj1024ELj4ELj64ELN6hipcub21WarpExchangeAlgorithmE0E18StripedToBlockedOpiEvPT4_S4_
	.p2align	8
	.type	_Z20warp_exchange_kernelILj1024ELj4ELj64ELN6hipcub21WarpExchangeAlgorithmE0E18StripedToBlockedOpiEvPT4_S4_,@function
_Z20warp_exchange_kernelILj1024ELj4ELj64ELN6hipcub21WarpExchangeAlgorithmE0E18StripedToBlockedOpiEvPT4_S4_: ; @_Z20warp_exchange_kernelILj1024ELj4ELj64ELN6hipcub21WarpExchangeAlgorithmE0E18StripedToBlockedOpiEvPT4_S4_
; %bb.0:
	s_load_dwordx4 s[0:3], s[4:5], 0x0
	v_lshlrev_b32_e32 v4, 4, v0
	v_mbcnt_lo_u32_b32 v5, -1, 0
	v_mbcnt_hi_u32_b32 v5, -1, v5
	v_and_b32_e32 v6, 0x3c00, v4
	s_waitcnt lgkmcnt(0)
	global_load_dwordx4 v[0:3], v4, s[0:1]
	v_lshl_or_b32 v7, v5, 2, v6
	v_lshl_add_u32 v5, v5, 4, v6
	s_waitcnt vmcnt(0)
	ds_write2st64_b32 v7, v0, v1 offset1:1
	ds_write2st64_b32 v7, v2, v3 offset0:2 offset1:3
	; wave barrier
	ds_read_b128 v[0:3], v5
	s_waitcnt lgkmcnt(0)
	global_store_dwordx4 v4, v[0:3], s[2:3]
	s_endpgm
	.section	.rodata,"a",@progbits
	.p2align	6, 0x0
	.amdhsa_kernel _Z20warp_exchange_kernelILj1024ELj4ELj64ELN6hipcub21WarpExchangeAlgorithmE0E18StripedToBlockedOpiEvPT4_S4_
		.amdhsa_group_segment_fixed_size 16384
		.amdhsa_private_segment_fixed_size 0
		.amdhsa_kernarg_size 16
		.amdhsa_user_sgpr_count 6
		.amdhsa_user_sgpr_private_segment_buffer 1
		.amdhsa_user_sgpr_dispatch_ptr 0
		.amdhsa_user_sgpr_queue_ptr 0
		.amdhsa_user_sgpr_kernarg_segment_ptr 1
		.amdhsa_user_sgpr_dispatch_id 0
		.amdhsa_user_sgpr_flat_scratch_init 0
		.amdhsa_user_sgpr_kernarg_preload_length 0
		.amdhsa_user_sgpr_kernarg_preload_offset 0
		.amdhsa_user_sgpr_private_segment_size 0
		.amdhsa_uses_dynamic_stack 0
		.amdhsa_system_sgpr_private_segment_wavefront_offset 0
		.amdhsa_system_sgpr_workgroup_id_x 1
		.amdhsa_system_sgpr_workgroup_id_y 0
		.amdhsa_system_sgpr_workgroup_id_z 0
		.amdhsa_system_sgpr_workgroup_info 0
		.amdhsa_system_vgpr_workitem_id 0
		.amdhsa_next_free_vgpr 8
		.amdhsa_next_free_sgpr 6
		.amdhsa_accum_offset 8
		.amdhsa_reserve_vcc 0
		.amdhsa_reserve_flat_scratch 0
		.amdhsa_float_round_mode_32 0
		.amdhsa_float_round_mode_16_64 0
		.amdhsa_float_denorm_mode_32 3
		.amdhsa_float_denorm_mode_16_64 3
		.amdhsa_dx10_clamp 1
		.amdhsa_ieee_mode 1
		.amdhsa_fp16_overflow 0
		.amdhsa_tg_split 0
		.amdhsa_exception_fp_ieee_invalid_op 0
		.amdhsa_exception_fp_denorm_src 0
		.amdhsa_exception_fp_ieee_div_zero 0
		.amdhsa_exception_fp_ieee_overflow 0
		.amdhsa_exception_fp_ieee_underflow 0
		.amdhsa_exception_fp_ieee_inexact 0
		.amdhsa_exception_int_div_zero 0
	.end_amdhsa_kernel
	.section	.text._Z20warp_exchange_kernelILj1024ELj4ELj64ELN6hipcub21WarpExchangeAlgorithmE0E18StripedToBlockedOpiEvPT4_S4_,"axG",@progbits,_Z20warp_exchange_kernelILj1024ELj4ELj64ELN6hipcub21WarpExchangeAlgorithmE0E18StripedToBlockedOpiEvPT4_S4_,comdat
.Lfunc_end25:
	.size	_Z20warp_exchange_kernelILj1024ELj4ELj64ELN6hipcub21WarpExchangeAlgorithmE0E18StripedToBlockedOpiEvPT4_S4_, .Lfunc_end25-_Z20warp_exchange_kernelILj1024ELj4ELj64ELN6hipcub21WarpExchangeAlgorithmE0E18StripedToBlockedOpiEvPT4_S4_
                                        ; -- End function
	.section	.AMDGPU.csdata,"",@progbits
; Kernel info:
; codeLenInByte = 108
; NumSgprs: 10
; NumVgprs: 8
; NumAgprs: 0
; TotalNumVgprs: 8
; ScratchSize: 0
; MemoryBound: 0
; FloatMode: 240
; IeeeMode: 1
; LDSByteSize: 16384 bytes/workgroup (compile time only)
; SGPRBlocks: 1
; VGPRBlocks: 0
; NumSGPRsForWavesPerEU: 10
; NumVGPRsForWavesPerEU: 8
; AccumOffset: 8
; Occupancy: 8
; WaveLimiterHint : 0
; COMPUTE_PGM_RSRC2:SCRATCH_EN: 0
; COMPUTE_PGM_RSRC2:USER_SGPR: 6
; COMPUTE_PGM_RSRC2:TRAP_HANDLER: 0
; COMPUTE_PGM_RSRC2:TGID_X_EN: 1
; COMPUTE_PGM_RSRC2:TGID_Y_EN: 0
; COMPUTE_PGM_RSRC2:TGID_Z_EN: 0
; COMPUTE_PGM_RSRC2:TIDIG_COMP_CNT: 0
; COMPUTE_PGM_RSRC3_GFX90A:ACCUM_OFFSET: 1
; COMPUTE_PGM_RSRC3_GFX90A:TG_SPLIT: 0
	.section	.text._Z20warp_exchange_kernelILj1024ELj1ELj64ELN6hipcub21WarpExchangeAlgorithmE0E18StripedToBlockedOpiEvPT4_S4_,"axG",@progbits,_Z20warp_exchange_kernelILj1024ELj1ELj64ELN6hipcub21WarpExchangeAlgorithmE0E18StripedToBlockedOpiEvPT4_S4_,comdat
	.protected	_Z20warp_exchange_kernelILj1024ELj1ELj64ELN6hipcub21WarpExchangeAlgorithmE0E18StripedToBlockedOpiEvPT4_S4_ ; -- Begin function _Z20warp_exchange_kernelILj1024ELj1ELj64ELN6hipcub21WarpExchangeAlgorithmE0E18StripedToBlockedOpiEvPT4_S4_
	.globl	_Z20warp_exchange_kernelILj1024ELj1ELj64ELN6hipcub21WarpExchangeAlgorithmE0E18StripedToBlockedOpiEvPT4_S4_
	.p2align	8
	.type	_Z20warp_exchange_kernelILj1024ELj1ELj64ELN6hipcub21WarpExchangeAlgorithmE0E18StripedToBlockedOpiEvPT4_S4_,@function
_Z20warp_exchange_kernelILj1024ELj1ELj64ELN6hipcub21WarpExchangeAlgorithmE0E18StripedToBlockedOpiEvPT4_S4_: ; @_Z20warp_exchange_kernelILj1024ELj1ELj64ELN6hipcub21WarpExchangeAlgorithmE0E18StripedToBlockedOpiEvPT4_S4_
; %bb.0:
	s_load_dwordx4 s[0:3], s[4:5], 0x0
	v_lshlrev_b32_e32 v0, 2, v0
	v_mbcnt_lo_u32_b32 v2, -1, 0
	v_mbcnt_hi_u32_b32 v2, -1, v2
	v_and_b32_e32 v3, 0xf00, v0
	s_waitcnt lgkmcnt(0)
	global_load_dword v1, v0, s[0:1]
	v_lshl_add_u32 v2, v2, 2, v3
	s_waitcnt vmcnt(0)
	ds_write_b32 v2, v1
	; wave barrier
	ds_read_b32 v1, v2
	s_waitcnt lgkmcnt(0)
	global_store_dword v0, v1, s[2:3]
	s_endpgm
	.section	.rodata,"a",@progbits
	.p2align	6, 0x0
	.amdhsa_kernel _Z20warp_exchange_kernelILj1024ELj1ELj64ELN6hipcub21WarpExchangeAlgorithmE0E18StripedToBlockedOpiEvPT4_S4_
		.amdhsa_group_segment_fixed_size 4096
		.amdhsa_private_segment_fixed_size 0
		.amdhsa_kernarg_size 16
		.amdhsa_user_sgpr_count 6
		.amdhsa_user_sgpr_private_segment_buffer 1
		.amdhsa_user_sgpr_dispatch_ptr 0
		.amdhsa_user_sgpr_queue_ptr 0
		.amdhsa_user_sgpr_kernarg_segment_ptr 1
		.amdhsa_user_sgpr_dispatch_id 0
		.amdhsa_user_sgpr_flat_scratch_init 0
		.amdhsa_user_sgpr_kernarg_preload_length 0
		.amdhsa_user_sgpr_kernarg_preload_offset 0
		.amdhsa_user_sgpr_private_segment_size 0
		.amdhsa_uses_dynamic_stack 0
		.amdhsa_system_sgpr_private_segment_wavefront_offset 0
		.amdhsa_system_sgpr_workgroup_id_x 1
		.amdhsa_system_sgpr_workgroup_id_y 0
		.amdhsa_system_sgpr_workgroup_id_z 0
		.amdhsa_system_sgpr_workgroup_info 0
		.amdhsa_system_vgpr_workitem_id 0
		.amdhsa_next_free_vgpr 4
		.amdhsa_next_free_sgpr 6
		.amdhsa_accum_offset 4
		.amdhsa_reserve_vcc 0
		.amdhsa_reserve_flat_scratch 0
		.amdhsa_float_round_mode_32 0
		.amdhsa_float_round_mode_16_64 0
		.amdhsa_float_denorm_mode_32 3
		.amdhsa_float_denorm_mode_16_64 3
		.amdhsa_dx10_clamp 1
		.amdhsa_ieee_mode 1
		.amdhsa_fp16_overflow 0
		.amdhsa_tg_split 0
		.amdhsa_exception_fp_ieee_invalid_op 0
		.amdhsa_exception_fp_denorm_src 0
		.amdhsa_exception_fp_ieee_div_zero 0
		.amdhsa_exception_fp_ieee_overflow 0
		.amdhsa_exception_fp_ieee_underflow 0
		.amdhsa_exception_fp_ieee_inexact 0
		.amdhsa_exception_int_div_zero 0
	.end_amdhsa_kernel
	.section	.text._Z20warp_exchange_kernelILj1024ELj1ELj64ELN6hipcub21WarpExchangeAlgorithmE0E18StripedToBlockedOpiEvPT4_S4_,"axG",@progbits,_Z20warp_exchange_kernelILj1024ELj1ELj64ELN6hipcub21WarpExchangeAlgorithmE0E18StripedToBlockedOpiEvPT4_S4_,comdat
.Lfunc_end26:
	.size	_Z20warp_exchange_kernelILj1024ELj1ELj64ELN6hipcub21WarpExchangeAlgorithmE0E18StripedToBlockedOpiEvPT4_S4_, .Lfunc_end26-_Z20warp_exchange_kernelILj1024ELj1ELj64ELN6hipcub21WarpExchangeAlgorithmE0E18StripedToBlockedOpiEvPT4_S4_
                                        ; -- End function
	.section	.AMDGPU.csdata,"",@progbits
; Kernel info:
; codeLenInByte = 92
; NumSgprs: 10
; NumVgprs: 4
; NumAgprs: 0
; TotalNumVgprs: 4
; ScratchSize: 0
; MemoryBound: 0
; FloatMode: 240
; IeeeMode: 1
; LDSByteSize: 4096 bytes/workgroup (compile time only)
; SGPRBlocks: 1
; VGPRBlocks: 0
; NumSGPRsForWavesPerEU: 10
; NumVGPRsForWavesPerEU: 4
; AccumOffset: 4
; Occupancy: 8
; WaveLimiterHint : 0
; COMPUTE_PGM_RSRC2:SCRATCH_EN: 0
; COMPUTE_PGM_RSRC2:USER_SGPR: 6
; COMPUTE_PGM_RSRC2:TRAP_HANDLER: 0
; COMPUTE_PGM_RSRC2:TGID_X_EN: 1
; COMPUTE_PGM_RSRC2:TGID_Y_EN: 0
; COMPUTE_PGM_RSRC2:TGID_Z_EN: 0
; COMPUTE_PGM_RSRC2:TIDIG_COMP_CNT: 0
; COMPUTE_PGM_RSRC3_GFX90A:ACCUM_OFFSET: 0
; COMPUTE_PGM_RSRC3_GFX90A:TG_SPLIT: 0
	.section	.text._Z20warp_exchange_kernelILj1024ELj5ELj32ELN6hipcub21WarpExchangeAlgorithmE0E18StripedToBlockedOpiEvPT4_S4_,"axG",@progbits,_Z20warp_exchange_kernelILj1024ELj5ELj32ELN6hipcub21WarpExchangeAlgorithmE0E18StripedToBlockedOpiEvPT4_S4_,comdat
	.protected	_Z20warp_exchange_kernelILj1024ELj5ELj32ELN6hipcub21WarpExchangeAlgorithmE0E18StripedToBlockedOpiEvPT4_S4_ ; -- Begin function _Z20warp_exchange_kernelILj1024ELj5ELj32ELN6hipcub21WarpExchangeAlgorithmE0E18StripedToBlockedOpiEvPT4_S4_
	.globl	_Z20warp_exchange_kernelILj1024ELj5ELj32ELN6hipcub21WarpExchangeAlgorithmE0E18StripedToBlockedOpiEvPT4_S4_
	.p2align	8
	.type	_Z20warp_exchange_kernelILj1024ELj5ELj32ELN6hipcub21WarpExchangeAlgorithmE0E18StripedToBlockedOpiEvPT4_S4_,@function
_Z20warp_exchange_kernelILj1024ELj5ELj32ELN6hipcub21WarpExchangeAlgorithmE0E18StripedToBlockedOpiEvPT4_S4_: ; @_Z20warp_exchange_kernelILj1024ELj5ELj32ELN6hipcub21WarpExchangeAlgorithmE0E18StripedToBlockedOpiEvPT4_S4_
; %bb.0:
	s_load_dwordx4 s[0:3], s[4:5], 0x0
	v_mul_u32_u24_e32 v1, 5, v0
	v_lshlrev_b32_e32 v6, 2, v1
	v_mbcnt_lo_u32_b32 v7, -1, 0
	v_lshrrev_b32_e32 v0, 5, v0
	s_waitcnt lgkmcnt(0)
	global_load_dwordx4 v[2:5], v6, s[0:1]
	global_load_dword v1, v6, s[0:1] offset:16
	v_mbcnt_hi_u32_b32 v7, -1, v7
	v_mul_u32_u24_e32 v0, 0x280, v0
	v_and_b32_e32 v7, 31, v7
	v_lshl_or_b32 v0, v7, 2, v0
	v_lshl_add_u32 v7, v7, 4, v0
	s_waitcnt vmcnt(1)
	ds_write2_b32 v0, v2, v3 offset1:32
	ds_write2_b32 v0, v4, v5 offset0:64 offset1:96
	s_waitcnt vmcnt(0)
	ds_write_b32 v0, v1 offset:512
	; wave barrier
	ds_read2_b32 v[0:1], v7 offset1:1
	ds_read2_b32 v[2:3], v7 offset0:2 offset1:3
	ds_read_b32 v4, v7 offset:16
	s_waitcnt lgkmcnt(1)
	global_store_dwordx4 v6, v[0:3], s[2:3]
	s_waitcnt lgkmcnt(0)
	global_store_dword v6, v4, s[2:3] offset:16
	s_endpgm
	.section	.rodata,"a",@progbits
	.p2align	6, 0x0
	.amdhsa_kernel _Z20warp_exchange_kernelILj1024ELj5ELj32ELN6hipcub21WarpExchangeAlgorithmE0E18StripedToBlockedOpiEvPT4_S4_
		.amdhsa_group_segment_fixed_size 20480
		.amdhsa_private_segment_fixed_size 0
		.amdhsa_kernarg_size 16
		.amdhsa_user_sgpr_count 6
		.amdhsa_user_sgpr_private_segment_buffer 1
		.amdhsa_user_sgpr_dispatch_ptr 0
		.amdhsa_user_sgpr_queue_ptr 0
		.amdhsa_user_sgpr_kernarg_segment_ptr 1
		.amdhsa_user_sgpr_dispatch_id 0
		.amdhsa_user_sgpr_flat_scratch_init 0
		.amdhsa_user_sgpr_kernarg_preload_length 0
		.amdhsa_user_sgpr_kernarg_preload_offset 0
		.amdhsa_user_sgpr_private_segment_size 0
		.amdhsa_uses_dynamic_stack 0
		.amdhsa_system_sgpr_private_segment_wavefront_offset 0
		.amdhsa_system_sgpr_workgroup_id_x 1
		.amdhsa_system_sgpr_workgroup_id_y 0
		.amdhsa_system_sgpr_workgroup_id_z 0
		.amdhsa_system_sgpr_workgroup_info 0
		.amdhsa_system_vgpr_workitem_id 0
		.amdhsa_next_free_vgpr 8
		.amdhsa_next_free_sgpr 6
		.amdhsa_accum_offset 8
		.amdhsa_reserve_vcc 0
		.amdhsa_reserve_flat_scratch 0
		.amdhsa_float_round_mode_32 0
		.amdhsa_float_round_mode_16_64 0
		.amdhsa_float_denorm_mode_32 3
		.amdhsa_float_denorm_mode_16_64 3
		.amdhsa_dx10_clamp 1
		.amdhsa_ieee_mode 1
		.amdhsa_fp16_overflow 0
		.amdhsa_tg_split 0
		.amdhsa_exception_fp_ieee_invalid_op 0
		.amdhsa_exception_fp_denorm_src 0
		.amdhsa_exception_fp_ieee_div_zero 0
		.amdhsa_exception_fp_ieee_overflow 0
		.amdhsa_exception_fp_ieee_underflow 0
		.amdhsa_exception_fp_ieee_inexact 0
		.amdhsa_exception_int_div_zero 0
	.end_amdhsa_kernel
	.section	.text._Z20warp_exchange_kernelILj1024ELj5ELj32ELN6hipcub21WarpExchangeAlgorithmE0E18StripedToBlockedOpiEvPT4_S4_,"axG",@progbits,_Z20warp_exchange_kernelILj1024ELj5ELj32ELN6hipcub21WarpExchangeAlgorithmE0E18StripedToBlockedOpiEvPT4_S4_,comdat
.Lfunc_end27:
	.size	_Z20warp_exchange_kernelILj1024ELj5ELj32ELN6hipcub21WarpExchangeAlgorithmE0E18StripedToBlockedOpiEvPT4_S4_, .Lfunc_end27-_Z20warp_exchange_kernelILj1024ELj5ELj32ELN6hipcub21WarpExchangeAlgorithmE0E18StripedToBlockedOpiEvPT4_S4_
                                        ; -- End function
	.section	.AMDGPU.csdata,"",@progbits
; Kernel info:
; codeLenInByte = 168
; NumSgprs: 10
; NumVgprs: 8
; NumAgprs: 0
; TotalNumVgprs: 8
; ScratchSize: 0
; MemoryBound: 0
; FloatMode: 240
; IeeeMode: 1
; LDSByteSize: 20480 bytes/workgroup (compile time only)
; SGPRBlocks: 1
; VGPRBlocks: 0
; NumSGPRsForWavesPerEU: 10
; NumVGPRsForWavesPerEU: 8
; AccumOffset: 8
; Occupancy: 8
; WaveLimiterHint : 0
; COMPUTE_PGM_RSRC2:SCRATCH_EN: 0
; COMPUTE_PGM_RSRC2:USER_SGPR: 6
; COMPUTE_PGM_RSRC2:TRAP_HANDLER: 0
; COMPUTE_PGM_RSRC2:TGID_X_EN: 1
; COMPUTE_PGM_RSRC2:TGID_Y_EN: 0
; COMPUTE_PGM_RSRC2:TGID_Z_EN: 0
; COMPUTE_PGM_RSRC2:TIDIG_COMP_CNT: 0
; COMPUTE_PGM_RSRC3_GFX90A:ACCUM_OFFSET: 1
; COMPUTE_PGM_RSRC3_GFX90A:TG_SPLIT: 0
	.section	.text._Z20warp_exchange_kernelILj1024ELj4ELj32ELN6hipcub21WarpExchangeAlgorithmE0E18StripedToBlockedOpiEvPT4_S4_,"axG",@progbits,_Z20warp_exchange_kernelILj1024ELj4ELj32ELN6hipcub21WarpExchangeAlgorithmE0E18StripedToBlockedOpiEvPT4_S4_,comdat
	.protected	_Z20warp_exchange_kernelILj1024ELj4ELj32ELN6hipcub21WarpExchangeAlgorithmE0E18StripedToBlockedOpiEvPT4_S4_ ; -- Begin function _Z20warp_exchange_kernelILj1024ELj4ELj32ELN6hipcub21WarpExchangeAlgorithmE0E18StripedToBlockedOpiEvPT4_S4_
	.globl	_Z20warp_exchange_kernelILj1024ELj4ELj32ELN6hipcub21WarpExchangeAlgorithmE0E18StripedToBlockedOpiEvPT4_S4_
	.p2align	8
	.type	_Z20warp_exchange_kernelILj1024ELj4ELj32ELN6hipcub21WarpExchangeAlgorithmE0E18StripedToBlockedOpiEvPT4_S4_,@function
_Z20warp_exchange_kernelILj1024ELj4ELj32ELN6hipcub21WarpExchangeAlgorithmE0E18StripedToBlockedOpiEvPT4_S4_: ; @_Z20warp_exchange_kernelILj1024ELj4ELj32ELN6hipcub21WarpExchangeAlgorithmE0E18StripedToBlockedOpiEvPT4_S4_
; %bb.0:
	s_load_dwordx4 s[0:3], s[4:5], 0x0
	v_lshlrev_b32_e32 v4, 4, v0
	v_mbcnt_lo_u32_b32 v5, -1, 0
	v_mbcnt_hi_u32_b32 v5, -1, v5
	v_and_b32_e32 v5, 31, v5
	s_waitcnt lgkmcnt(0)
	global_load_dwordx4 v[0:3], v4, s[0:1]
	s_movk_i32 s0, 0x3e00
	v_lshlrev_b32_e32 v6, 2, v5
	v_and_or_b32 v6, v4, s0, v6
	v_mad_u32_u24 v5, v5, 12, v6
	s_waitcnt vmcnt(0)
	ds_write2_b32 v6, v0, v1 offset1:32
	ds_write2_b32 v6, v2, v3 offset0:64 offset1:96
	; wave barrier
	ds_read_b128 v[0:3], v5
	s_waitcnt lgkmcnt(0)
	global_store_dwordx4 v4, v[0:3], s[2:3]
	s_endpgm
	.section	.rodata,"a",@progbits
	.p2align	6, 0x0
	.amdhsa_kernel _Z20warp_exchange_kernelILj1024ELj4ELj32ELN6hipcub21WarpExchangeAlgorithmE0E18StripedToBlockedOpiEvPT4_S4_
		.amdhsa_group_segment_fixed_size 16384
		.amdhsa_private_segment_fixed_size 0
		.amdhsa_kernarg_size 16
		.amdhsa_user_sgpr_count 6
		.amdhsa_user_sgpr_private_segment_buffer 1
		.amdhsa_user_sgpr_dispatch_ptr 0
		.amdhsa_user_sgpr_queue_ptr 0
		.amdhsa_user_sgpr_kernarg_segment_ptr 1
		.amdhsa_user_sgpr_dispatch_id 0
		.amdhsa_user_sgpr_flat_scratch_init 0
		.amdhsa_user_sgpr_kernarg_preload_length 0
		.amdhsa_user_sgpr_kernarg_preload_offset 0
		.amdhsa_user_sgpr_private_segment_size 0
		.amdhsa_uses_dynamic_stack 0
		.amdhsa_system_sgpr_private_segment_wavefront_offset 0
		.amdhsa_system_sgpr_workgroup_id_x 1
		.amdhsa_system_sgpr_workgroup_id_y 0
		.amdhsa_system_sgpr_workgroup_id_z 0
		.amdhsa_system_sgpr_workgroup_info 0
		.amdhsa_system_vgpr_workitem_id 0
		.amdhsa_next_free_vgpr 7
		.amdhsa_next_free_sgpr 6
		.amdhsa_accum_offset 8
		.amdhsa_reserve_vcc 0
		.amdhsa_reserve_flat_scratch 0
		.amdhsa_float_round_mode_32 0
		.amdhsa_float_round_mode_16_64 0
		.amdhsa_float_denorm_mode_32 3
		.amdhsa_float_denorm_mode_16_64 3
		.amdhsa_dx10_clamp 1
		.amdhsa_ieee_mode 1
		.amdhsa_fp16_overflow 0
		.amdhsa_tg_split 0
		.amdhsa_exception_fp_ieee_invalid_op 0
		.amdhsa_exception_fp_denorm_src 0
		.amdhsa_exception_fp_ieee_div_zero 0
		.amdhsa_exception_fp_ieee_overflow 0
		.amdhsa_exception_fp_ieee_underflow 0
		.amdhsa_exception_fp_ieee_inexact 0
		.amdhsa_exception_int_div_zero 0
	.end_amdhsa_kernel
	.section	.text._Z20warp_exchange_kernelILj1024ELj4ELj32ELN6hipcub21WarpExchangeAlgorithmE0E18StripedToBlockedOpiEvPT4_S4_,"axG",@progbits,_Z20warp_exchange_kernelILj1024ELj4ELj32ELN6hipcub21WarpExchangeAlgorithmE0E18StripedToBlockedOpiEvPT4_S4_,comdat
.Lfunc_end28:
	.size	_Z20warp_exchange_kernelILj1024ELj4ELj32ELN6hipcub21WarpExchangeAlgorithmE0E18StripedToBlockedOpiEvPT4_S4_, .Lfunc_end28-_Z20warp_exchange_kernelILj1024ELj4ELj32ELN6hipcub21WarpExchangeAlgorithmE0E18StripedToBlockedOpiEvPT4_S4_
                                        ; -- End function
	.section	.AMDGPU.csdata,"",@progbits
; Kernel info:
; codeLenInByte = 112
; NumSgprs: 10
; NumVgprs: 7
; NumAgprs: 0
; TotalNumVgprs: 7
; ScratchSize: 0
; MemoryBound: 0
; FloatMode: 240
; IeeeMode: 1
; LDSByteSize: 16384 bytes/workgroup (compile time only)
; SGPRBlocks: 1
; VGPRBlocks: 0
; NumSGPRsForWavesPerEU: 10
; NumVGPRsForWavesPerEU: 7
; AccumOffset: 8
; Occupancy: 8
; WaveLimiterHint : 0
; COMPUTE_PGM_RSRC2:SCRATCH_EN: 0
; COMPUTE_PGM_RSRC2:USER_SGPR: 6
; COMPUTE_PGM_RSRC2:TRAP_HANDLER: 0
; COMPUTE_PGM_RSRC2:TGID_X_EN: 1
; COMPUTE_PGM_RSRC2:TGID_Y_EN: 0
; COMPUTE_PGM_RSRC2:TGID_Z_EN: 0
; COMPUTE_PGM_RSRC2:TIDIG_COMP_CNT: 0
; COMPUTE_PGM_RSRC3_GFX90A:ACCUM_OFFSET: 1
; COMPUTE_PGM_RSRC3_GFX90A:TG_SPLIT: 0
	.section	.text._Z20warp_exchange_kernelILj1024ELj1ELj32ELN6hipcub21WarpExchangeAlgorithmE0E18StripedToBlockedOpiEvPT4_S4_,"axG",@progbits,_Z20warp_exchange_kernelILj1024ELj1ELj32ELN6hipcub21WarpExchangeAlgorithmE0E18StripedToBlockedOpiEvPT4_S4_,comdat
	.protected	_Z20warp_exchange_kernelILj1024ELj1ELj32ELN6hipcub21WarpExchangeAlgorithmE0E18StripedToBlockedOpiEvPT4_S4_ ; -- Begin function _Z20warp_exchange_kernelILj1024ELj1ELj32ELN6hipcub21WarpExchangeAlgorithmE0E18StripedToBlockedOpiEvPT4_S4_
	.globl	_Z20warp_exchange_kernelILj1024ELj1ELj32ELN6hipcub21WarpExchangeAlgorithmE0E18StripedToBlockedOpiEvPT4_S4_
	.p2align	8
	.type	_Z20warp_exchange_kernelILj1024ELj1ELj32ELN6hipcub21WarpExchangeAlgorithmE0E18StripedToBlockedOpiEvPT4_S4_,@function
_Z20warp_exchange_kernelILj1024ELj1ELj32ELN6hipcub21WarpExchangeAlgorithmE0E18StripedToBlockedOpiEvPT4_S4_: ; @_Z20warp_exchange_kernelILj1024ELj1ELj32ELN6hipcub21WarpExchangeAlgorithmE0E18StripedToBlockedOpiEvPT4_S4_
; %bb.0:
	s_load_dwordx4 s[0:3], s[4:5], 0x0
	v_lshlrev_b32_e32 v0, 2, v0
	v_mbcnt_lo_u32_b32 v2, -1, 0
	v_mbcnt_hi_u32_b32 v2, -1, v2
	v_and_b32_e32 v2, 31, v2
	s_waitcnt lgkmcnt(0)
	global_load_dword v1, v0, s[0:1]
	s_movk_i32 s0, 0xf80
	v_lshlrev_b32_e32 v2, 2, v2
	v_and_or_b32 v2, v0, s0, v2
	s_waitcnt vmcnt(0)
	ds_write_b32 v2, v1
	; wave barrier
	ds_read_b32 v1, v2
	s_waitcnt lgkmcnt(0)
	global_store_dword v0, v1, s[2:3]
	s_endpgm
	.section	.rodata,"a",@progbits
	.p2align	6, 0x0
	.amdhsa_kernel _Z20warp_exchange_kernelILj1024ELj1ELj32ELN6hipcub21WarpExchangeAlgorithmE0E18StripedToBlockedOpiEvPT4_S4_
		.amdhsa_group_segment_fixed_size 4096
		.amdhsa_private_segment_fixed_size 0
		.amdhsa_kernarg_size 16
		.amdhsa_user_sgpr_count 6
		.amdhsa_user_sgpr_private_segment_buffer 1
		.amdhsa_user_sgpr_dispatch_ptr 0
		.amdhsa_user_sgpr_queue_ptr 0
		.amdhsa_user_sgpr_kernarg_segment_ptr 1
		.amdhsa_user_sgpr_dispatch_id 0
		.amdhsa_user_sgpr_flat_scratch_init 0
		.amdhsa_user_sgpr_kernarg_preload_length 0
		.amdhsa_user_sgpr_kernarg_preload_offset 0
		.amdhsa_user_sgpr_private_segment_size 0
		.amdhsa_uses_dynamic_stack 0
		.amdhsa_system_sgpr_private_segment_wavefront_offset 0
		.amdhsa_system_sgpr_workgroup_id_x 1
		.amdhsa_system_sgpr_workgroup_id_y 0
		.amdhsa_system_sgpr_workgroup_id_z 0
		.amdhsa_system_sgpr_workgroup_info 0
		.amdhsa_system_vgpr_workitem_id 0
		.amdhsa_next_free_vgpr 3
		.amdhsa_next_free_sgpr 6
		.amdhsa_accum_offset 4
		.amdhsa_reserve_vcc 0
		.amdhsa_reserve_flat_scratch 0
		.amdhsa_float_round_mode_32 0
		.amdhsa_float_round_mode_16_64 0
		.amdhsa_float_denorm_mode_32 3
		.amdhsa_float_denorm_mode_16_64 3
		.amdhsa_dx10_clamp 1
		.amdhsa_ieee_mode 1
		.amdhsa_fp16_overflow 0
		.amdhsa_tg_split 0
		.amdhsa_exception_fp_ieee_invalid_op 0
		.amdhsa_exception_fp_denorm_src 0
		.amdhsa_exception_fp_ieee_div_zero 0
		.amdhsa_exception_fp_ieee_overflow 0
		.amdhsa_exception_fp_ieee_underflow 0
		.amdhsa_exception_fp_ieee_inexact 0
		.amdhsa_exception_int_div_zero 0
	.end_amdhsa_kernel
	.section	.text._Z20warp_exchange_kernelILj1024ELj1ELj32ELN6hipcub21WarpExchangeAlgorithmE0E18StripedToBlockedOpiEvPT4_S4_,"axG",@progbits,_Z20warp_exchange_kernelILj1024ELj1ELj32ELN6hipcub21WarpExchangeAlgorithmE0E18StripedToBlockedOpiEvPT4_S4_,comdat
.Lfunc_end29:
	.size	_Z20warp_exchange_kernelILj1024ELj1ELj32ELN6hipcub21WarpExchangeAlgorithmE0E18StripedToBlockedOpiEvPT4_S4_, .Lfunc_end29-_Z20warp_exchange_kernelILj1024ELj1ELj32ELN6hipcub21WarpExchangeAlgorithmE0E18StripedToBlockedOpiEvPT4_S4_
                                        ; -- End function
	.section	.AMDGPU.csdata,"",@progbits
; Kernel info:
; codeLenInByte = 96
; NumSgprs: 10
; NumVgprs: 3
; NumAgprs: 0
; TotalNumVgprs: 3
; ScratchSize: 0
; MemoryBound: 0
; FloatMode: 240
; IeeeMode: 1
; LDSByteSize: 4096 bytes/workgroup (compile time only)
; SGPRBlocks: 1
; VGPRBlocks: 0
; NumSGPRsForWavesPerEU: 10
; NumVGPRsForWavesPerEU: 3
; AccumOffset: 4
; Occupancy: 8
; WaveLimiterHint : 0
; COMPUTE_PGM_RSRC2:SCRATCH_EN: 0
; COMPUTE_PGM_RSRC2:USER_SGPR: 6
; COMPUTE_PGM_RSRC2:TRAP_HANDLER: 0
; COMPUTE_PGM_RSRC2:TGID_X_EN: 1
; COMPUTE_PGM_RSRC2:TGID_Y_EN: 0
; COMPUTE_PGM_RSRC2:TGID_Z_EN: 0
; COMPUTE_PGM_RSRC2:TIDIG_COMP_CNT: 0
; COMPUTE_PGM_RSRC3_GFX90A:ACCUM_OFFSET: 0
; COMPUTE_PGM_RSRC3_GFX90A:TG_SPLIT: 0
	.section	.text._Z20warp_exchange_kernelILj1024ELj5ELj16ELN6hipcub21WarpExchangeAlgorithmE0E18StripedToBlockedOpiEvPT4_S4_,"axG",@progbits,_Z20warp_exchange_kernelILj1024ELj5ELj16ELN6hipcub21WarpExchangeAlgorithmE0E18StripedToBlockedOpiEvPT4_S4_,comdat
	.protected	_Z20warp_exchange_kernelILj1024ELj5ELj16ELN6hipcub21WarpExchangeAlgorithmE0E18StripedToBlockedOpiEvPT4_S4_ ; -- Begin function _Z20warp_exchange_kernelILj1024ELj5ELj16ELN6hipcub21WarpExchangeAlgorithmE0E18StripedToBlockedOpiEvPT4_S4_
	.globl	_Z20warp_exchange_kernelILj1024ELj5ELj16ELN6hipcub21WarpExchangeAlgorithmE0E18StripedToBlockedOpiEvPT4_S4_
	.p2align	8
	.type	_Z20warp_exchange_kernelILj1024ELj5ELj16ELN6hipcub21WarpExchangeAlgorithmE0E18StripedToBlockedOpiEvPT4_S4_,@function
_Z20warp_exchange_kernelILj1024ELj5ELj16ELN6hipcub21WarpExchangeAlgorithmE0E18StripedToBlockedOpiEvPT4_S4_: ; @_Z20warp_exchange_kernelILj1024ELj5ELj16ELN6hipcub21WarpExchangeAlgorithmE0E18StripedToBlockedOpiEvPT4_S4_
; %bb.0:
	s_load_dwordx4 s[0:3], s[4:5], 0x0
	v_mul_u32_u24_e32 v1, 5, v0
	v_lshlrev_b32_e32 v6, 2, v1
	v_mbcnt_lo_u32_b32 v7, -1, 0
	v_lshrrev_b32_e32 v0, 4, v0
	s_waitcnt lgkmcnt(0)
	global_load_dwordx4 v[2:5], v6, s[0:1]
	global_load_dword v1, v6, s[0:1] offset:16
	v_mbcnt_hi_u32_b32 v7, -1, v7
	v_mul_u32_u24_e32 v0, 0x140, v0
	v_and_b32_e32 v7, 15, v7
	v_lshl_or_b32 v0, v7, 2, v0
	v_lshl_add_u32 v7, v7, 4, v0
	s_waitcnt vmcnt(1)
	ds_write2_b32 v0, v2, v3 offset1:16
	ds_write2_b32 v0, v4, v5 offset0:32 offset1:48
	s_waitcnt vmcnt(0)
	ds_write_b32 v0, v1 offset:256
	; wave barrier
	ds_read2_b32 v[0:1], v7 offset1:1
	ds_read2_b32 v[2:3], v7 offset0:2 offset1:3
	ds_read_b32 v4, v7 offset:16
	s_waitcnt lgkmcnt(1)
	global_store_dwordx4 v6, v[0:3], s[2:3]
	s_waitcnt lgkmcnt(0)
	global_store_dword v6, v4, s[2:3] offset:16
	s_endpgm
	.section	.rodata,"a",@progbits
	.p2align	6, 0x0
	.amdhsa_kernel _Z20warp_exchange_kernelILj1024ELj5ELj16ELN6hipcub21WarpExchangeAlgorithmE0E18StripedToBlockedOpiEvPT4_S4_
		.amdhsa_group_segment_fixed_size 20480
		.amdhsa_private_segment_fixed_size 0
		.amdhsa_kernarg_size 16
		.amdhsa_user_sgpr_count 6
		.amdhsa_user_sgpr_private_segment_buffer 1
		.amdhsa_user_sgpr_dispatch_ptr 0
		.amdhsa_user_sgpr_queue_ptr 0
		.amdhsa_user_sgpr_kernarg_segment_ptr 1
		.amdhsa_user_sgpr_dispatch_id 0
		.amdhsa_user_sgpr_flat_scratch_init 0
		.amdhsa_user_sgpr_kernarg_preload_length 0
		.amdhsa_user_sgpr_kernarg_preload_offset 0
		.amdhsa_user_sgpr_private_segment_size 0
		.amdhsa_uses_dynamic_stack 0
		.amdhsa_system_sgpr_private_segment_wavefront_offset 0
		.amdhsa_system_sgpr_workgroup_id_x 1
		.amdhsa_system_sgpr_workgroup_id_y 0
		.amdhsa_system_sgpr_workgroup_id_z 0
		.amdhsa_system_sgpr_workgroup_info 0
		.amdhsa_system_vgpr_workitem_id 0
		.amdhsa_next_free_vgpr 8
		.amdhsa_next_free_sgpr 6
		.amdhsa_accum_offset 8
		.amdhsa_reserve_vcc 0
		.amdhsa_reserve_flat_scratch 0
		.amdhsa_float_round_mode_32 0
		.amdhsa_float_round_mode_16_64 0
		.amdhsa_float_denorm_mode_32 3
		.amdhsa_float_denorm_mode_16_64 3
		.amdhsa_dx10_clamp 1
		.amdhsa_ieee_mode 1
		.amdhsa_fp16_overflow 0
		.amdhsa_tg_split 0
		.amdhsa_exception_fp_ieee_invalid_op 0
		.amdhsa_exception_fp_denorm_src 0
		.amdhsa_exception_fp_ieee_div_zero 0
		.amdhsa_exception_fp_ieee_overflow 0
		.amdhsa_exception_fp_ieee_underflow 0
		.amdhsa_exception_fp_ieee_inexact 0
		.amdhsa_exception_int_div_zero 0
	.end_amdhsa_kernel
	.section	.text._Z20warp_exchange_kernelILj1024ELj5ELj16ELN6hipcub21WarpExchangeAlgorithmE0E18StripedToBlockedOpiEvPT4_S4_,"axG",@progbits,_Z20warp_exchange_kernelILj1024ELj5ELj16ELN6hipcub21WarpExchangeAlgorithmE0E18StripedToBlockedOpiEvPT4_S4_,comdat
.Lfunc_end30:
	.size	_Z20warp_exchange_kernelILj1024ELj5ELj16ELN6hipcub21WarpExchangeAlgorithmE0E18StripedToBlockedOpiEvPT4_S4_, .Lfunc_end30-_Z20warp_exchange_kernelILj1024ELj5ELj16ELN6hipcub21WarpExchangeAlgorithmE0E18StripedToBlockedOpiEvPT4_S4_
                                        ; -- End function
	.section	.AMDGPU.csdata,"",@progbits
; Kernel info:
; codeLenInByte = 168
; NumSgprs: 10
; NumVgprs: 8
; NumAgprs: 0
; TotalNumVgprs: 8
; ScratchSize: 0
; MemoryBound: 0
; FloatMode: 240
; IeeeMode: 1
; LDSByteSize: 20480 bytes/workgroup (compile time only)
; SGPRBlocks: 1
; VGPRBlocks: 0
; NumSGPRsForWavesPerEU: 10
; NumVGPRsForWavesPerEU: 8
; AccumOffset: 8
; Occupancy: 8
; WaveLimiterHint : 0
; COMPUTE_PGM_RSRC2:SCRATCH_EN: 0
; COMPUTE_PGM_RSRC2:USER_SGPR: 6
; COMPUTE_PGM_RSRC2:TRAP_HANDLER: 0
; COMPUTE_PGM_RSRC2:TGID_X_EN: 1
; COMPUTE_PGM_RSRC2:TGID_Y_EN: 0
; COMPUTE_PGM_RSRC2:TGID_Z_EN: 0
; COMPUTE_PGM_RSRC2:TIDIG_COMP_CNT: 0
; COMPUTE_PGM_RSRC3_GFX90A:ACCUM_OFFSET: 1
; COMPUTE_PGM_RSRC3_GFX90A:TG_SPLIT: 0
	.section	.text._Z20warp_exchange_kernelILj1024ELj4ELj16ELN6hipcub21WarpExchangeAlgorithmE0E18StripedToBlockedOpiEvPT4_S4_,"axG",@progbits,_Z20warp_exchange_kernelILj1024ELj4ELj16ELN6hipcub21WarpExchangeAlgorithmE0E18StripedToBlockedOpiEvPT4_S4_,comdat
	.protected	_Z20warp_exchange_kernelILj1024ELj4ELj16ELN6hipcub21WarpExchangeAlgorithmE0E18StripedToBlockedOpiEvPT4_S4_ ; -- Begin function _Z20warp_exchange_kernelILj1024ELj4ELj16ELN6hipcub21WarpExchangeAlgorithmE0E18StripedToBlockedOpiEvPT4_S4_
	.globl	_Z20warp_exchange_kernelILj1024ELj4ELj16ELN6hipcub21WarpExchangeAlgorithmE0E18StripedToBlockedOpiEvPT4_S4_
	.p2align	8
	.type	_Z20warp_exchange_kernelILj1024ELj4ELj16ELN6hipcub21WarpExchangeAlgorithmE0E18StripedToBlockedOpiEvPT4_S4_,@function
_Z20warp_exchange_kernelILj1024ELj4ELj16ELN6hipcub21WarpExchangeAlgorithmE0E18StripedToBlockedOpiEvPT4_S4_: ; @_Z20warp_exchange_kernelILj1024ELj4ELj16ELN6hipcub21WarpExchangeAlgorithmE0E18StripedToBlockedOpiEvPT4_S4_
; %bb.0:
	s_load_dwordx4 s[0:3], s[4:5], 0x0
	v_lshlrev_b32_e32 v4, 4, v0
	v_mbcnt_lo_u32_b32 v5, -1, 0
	v_mbcnt_hi_u32_b32 v5, -1, v5
	v_and_b32_e32 v5, 15, v5
	s_waitcnt lgkmcnt(0)
	global_load_dwordx4 v[0:3], v4, s[0:1]
	s_movk_i32 s0, 0x3f00
	v_lshlrev_b32_e32 v6, 2, v5
	v_and_or_b32 v6, v4, s0, v6
	v_mad_u32_u24 v5, v5, 12, v6
	s_waitcnt vmcnt(0)
	ds_write2_b32 v6, v0, v1 offset1:16
	ds_write2_b32 v6, v2, v3 offset0:32 offset1:48
	; wave barrier
	ds_read_b128 v[0:3], v5
	s_waitcnt lgkmcnt(0)
	global_store_dwordx4 v4, v[0:3], s[2:3]
	s_endpgm
	.section	.rodata,"a",@progbits
	.p2align	6, 0x0
	.amdhsa_kernel _Z20warp_exchange_kernelILj1024ELj4ELj16ELN6hipcub21WarpExchangeAlgorithmE0E18StripedToBlockedOpiEvPT4_S4_
		.amdhsa_group_segment_fixed_size 16384
		.amdhsa_private_segment_fixed_size 0
		.amdhsa_kernarg_size 16
		.amdhsa_user_sgpr_count 6
		.amdhsa_user_sgpr_private_segment_buffer 1
		.amdhsa_user_sgpr_dispatch_ptr 0
		.amdhsa_user_sgpr_queue_ptr 0
		.amdhsa_user_sgpr_kernarg_segment_ptr 1
		.amdhsa_user_sgpr_dispatch_id 0
		.amdhsa_user_sgpr_flat_scratch_init 0
		.amdhsa_user_sgpr_kernarg_preload_length 0
		.amdhsa_user_sgpr_kernarg_preload_offset 0
		.amdhsa_user_sgpr_private_segment_size 0
		.amdhsa_uses_dynamic_stack 0
		.amdhsa_system_sgpr_private_segment_wavefront_offset 0
		.amdhsa_system_sgpr_workgroup_id_x 1
		.amdhsa_system_sgpr_workgroup_id_y 0
		.amdhsa_system_sgpr_workgroup_id_z 0
		.amdhsa_system_sgpr_workgroup_info 0
		.amdhsa_system_vgpr_workitem_id 0
		.amdhsa_next_free_vgpr 7
		.amdhsa_next_free_sgpr 6
		.amdhsa_accum_offset 8
		.amdhsa_reserve_vcc 0
		.amdhsa_reserve_flat_scratch 0
		.amdhsa_float_round_mode_32 0
		.amdhsa_float_round_mode_16_64 0
		.amdhsa_float_denorm_mode_32 3
		.amdhsa_float_denorm_mode_16_64 3
		.amdhsa_dx10_clamp 1
		.amdhsa_ieee_mode 1
		.amdhsa_fp16_overflow 0
		.amdhsa_tg_split 0
		.amdhsa_exception_fp_ieee_invalid_op 0
		.amdhsa_exception_fp_denorm_src 0
		.amdhsa_exception_fp_ieee_div_zero 0
		.amdhsa_exception_fp_ieee_overflow 0
		.amdhsa_exception_fp_ieee_underflow 0
		.amdhsa_exception_fp_ieee_inexact 0
		.amdhsa_exception_int_div_zero 0
	.end_amdhsa_kernel
	.section	.text._Z20warp_exchange_kernelILj1024ELj4ELj16ELN6hipcub21WarpExchangeAlgorithmE0E18StripedToBlockedOpiEvPT4_S4_,"axG",@progbits,_Z20warp_exchange_kernelILj1024ELj4ELj16ELN6hipcub21WarpExchangeAlgorithmE0E18StripedToBlockedOpiEvPT4_S4_,comdat
.Lfunc_end31:
	.size	_Z20warp_exchange_kernelILj1024ELj4ELj16ELN6hipcub21WarpExchangeAlgorithmE0E18StripedToBlockedOpiEvPT4_S4_, .Lfunc_end31-_Z20warp_exchange_kernelILj1024ELj4ELj16ELN6hipcub21WarpExchangeAlgorithmE0E18StripedToBlockedOpiEvPT4_S4_
                                        ; -- End function
	.section	.AMDGPU.csdata,"",@progbits
; Kernel info:
; codeLenInByte = 112
; NumSgprs: 10
; NumVgprs: 7
; NumAgprs: 0
; TotalNumVgprs: 7
; ScratchSize: 0
; MemoryBound: 0
; FloatMode: 240
; IeeeMode: 1
; LDSByteSize: 16384 bytes/workgroup (compile time only)
; SGPRBlocks: 1
; VGPRBlocks: 0
; NumSGPRsForWavesPerEU: 10
; NumVGPRsForWavesPerEU: 7
; AccumOffset: 8
; Occupancy: 8
; WaveLimiterHint : 0
; COMPUTE_PGM_RSRC2:SCRATCH_EN: 0
; COMPUTE_PGM_RSRC2:USER_SGPR: 6
; COMPUTE_PGM_RSRC2:TRAP_HANDLER: 0
; COMPUTE_PGM_RSRC2:TGID_X_EN: 1
; COMPUTE_PGM_RSRC2:TGID_Y_EN: 0
; COMPUTE_PGM_RSRC2:TGID_Z_EN: 0
; COMPUTE_PGM_RSRC2:TIDIG_COMP_CNT: 0
; COMPUTE_PGM_RSRC3_GFX90A:ACCUM_OFFSET: 1
; COMPUTE_PGM_RSRC3_GFX90A:TG_SPLIT: 0
	.section	.text._Z20warp_exchange_kernelILj1024ELj1ELj16ELN6hipcub21WarpExchangeAlgorithmE0E18StripedToBlockedOpiEvPT4_S4_,"axG",@progbits,_Z20warp_exchange_kernelILj1024ELj1ELj16ELN6hipcub21WarpExchangeAlgorithmE0E18StripedToBlockedOpiEvPT4_S4_,comdat
	.protected	_Z20warp_exchange_kernelILj1024ELj1ELj16ELN6hipcub21WarpExchangeAlgorithmE0E18StripedToBlockedOpiEvPT4_S4_ ; -- Begin function _Z20warp_exchange_kernelILj1024ELj1ELj16ELN6hipcub21WarpExchangeAlgorithmE0E18StripedToBlockedOpiEvPT4_S4_
	.globl	_Z20warp_exchange_kernelILj1024ELj1ELj16ELN6hipcub21WarpExchangeAlgorithmE0E18StripedToBlockedOpiEvPT4_S4_
	.p2align	8
	.type	_Z20warp_exchange_kernelILj1024ELj1ELj16ELN6hipcub21WarpExchangeAlgorithmE0E18StripedToBlockedOpiEvPT4_S4_,@function
_Z20warp_exchange_kernelILj1024ELj1ELj16ELN6hipcub21WarpExchangeAlgorithmE0E18StripedToBlockedOpiEvPT4_S4_: ; @_Z20warp_exchange_kernelILj1024ELj1ELj16ELN6hipcub21WarpExchangeAlgorithmE0E18StripedToBlockedOpiEvPT4_S4_
; %bb.0:
	s_load_dwordx4 s[0:3], s[4:5], 0x0
	v_lshlrev_b32_e32 v0, 2, v0
	v_mbcnt_lo_u32_b32 v2, -1, 0
	v_mbcnt_hi_u32_b32 v2, -1, v2
	v_and_b32_e32 v2, 15, v2
	s_waitcnt lgkmcnt(0)
	global_load_dword v1, v0, s[0:1]
	s_movk_i32 s0, 0xfc0
	v_lshlrev_b32_e32 v2, 2, v2
	v_and_or_b32 v2, v0, s0, v2
	s_waitcnt vmcnt(0)
	ds_write_b32 v2, v1
	; wave barrier
	ds_read_b32 v1, v2
	s_waitcnt lgkmcnt(0)
	global_store_dword v0, v1, s[2:3]
	s_endpgm
	.section	.rodata,"a",@progbits
	.p2align	6, 0x0
	.amdhsa_kernel _Z20warp_exchange_kernelILj1024ELj1ELj16ELN6hipcub21WarpExchangeAlgorithmE0E18StripedToBlockedOpiEvPT4_S4_
		.amdhsa_group_segment_fixed_size 4096
		.amdhsa_private_segment_fixed_size 0
		.amdhsa_kernarg_size 16
		.amdhsa_user_sgpr_count 6
		.amdhsa_user_sgpr_private_segment_buffer 1
		.amdhsa_user_sgpr_dispatch_ptr 0
		.amdhsa_user_sgpr_queue_ptr 0
		.amdhsa_user_sgpr_kernarg_segment_ptr 1
		.amdhsa_user_sgpr_dispatch_id 0
		.amdhsa_user_sgpr_flat_scratch_init 0
		.amdhsa_user_sgpr_kernarg_preload_length 0
		.amdhsa_user_sgpr_kernarg_preload_offset 0
		.amdhsa_user_sgpr_private_segment_size 0
		.amdhsa_uses_dynamic_stack 0
		.amdhsa_system_sgpr_private_segment_wavefront_offset 0
		.amdhsa_system_sgpr_workgroup_id_x 1
		.amdhsa_system_sgpr_workgroup_id_y 0
		.amdhsa_system_sgpr_workgroup_id_z 0
		.amdhsa_system_sgpr_workgroup_info 0
		.amdhsa_system_vgpr_workitem_id 0
		.amdhsa_next_free_vgpr 3
		.amdhsa_next_free_sgpr 6
		.amdhsa_accum_offset 4
		.amdhsa_reserve_vcc 0
		.amdhsa_reserve_flat_scratch 0
		.amdhsa_float_round_mode_32 0
		.amdhsa_float_round_mode_16_64 0
		.amdhsa_float_denorm_mode_32 3
		.amdhsa_float_denorm_mode_16_64 3
		.amdhsa_dx10_clamp 1
		.amdhsa_ieee_mode 1
		.amdhsa_fp16_overflow 0
		.amdhsa_tg_split 0
		.amdhsa_exception_fp_ieee_invalid_op 0
		.amdhsa_exception_fp_denorm_src 0
		.amdhsa_exception_fp_ieee_div_zero 0
		.amdhsa_exception_fp_ieee_overflow 0
		.amdhsa_exception_fp_ieee_underflow 0
		.amdhsa_exception_fp_ieee_inexact 0
		.amdhsa_exception_int_div_zero 0
	.end_amdhsa_kernel
	.section	.text._Z20warp_exchange_kernelILj1024ELj1ELj16ELN6hipcub21WarpExchangeAlgorithmE0E18StripedToBlockedOpiEvPT4_S4_,"axG",@progbits,_Z20warp_exchange_kernelILj1024ELj1ELj16ELN6hipcub21WarpExchangeAlgorithmE0E18StripedToBlockedOpiEvPT4_S4_,comdat
.Lfunc_end32:
	.size	_Z20warp_exchange_kernelILj1024ELj1ELj16ELN6hipcub21WarpExchangeAlgorithmE0E18StripedToBlockedOpiEvPT4_S4_, .Lfunc_end32-_Z20warp_exchange_kernelILj1024ELj1ELj16ELN6hipcub21WarpExchangeAlgorithmE0E18StripedToBlockedOpiEvPT4_S4_
                                        ; -- End function
	.section	.AMDGPU.csdata,"",@progbits
; Kernel info:
; codeLenInByte = 96
; NumSgprs: 10
; NumVgprs: 3
; NumAgprs: 0
; TotalNumVgprs: 3
; ScratchSize: 0
; MemoryBound: 0
; FloatMode: 240
; IeeeMode: 1
; LDSByteSize: 4096 bytes/workgroup (compile time only)
; SGPRBlocks: 1
; VGPRBlocks: 0
; NumSGPRsForWavesPerEU: 10
; NumVGPRsForWavesPerEU: 3
; AccumOffset: 4
; Occupancy: 8
; WaveLimiterHint : 0
; COMPUTE_PGM_RSRC2:SCRATCH_EN: 0
; COMPUTE_PGM_RSRC2:USER_SGPR: 6
; COMPUTE_PGM_RSRC2:TRAP_HANDLER: 0
; COMPUTE_PGM_RSRC2:TGID_X_EN: 1
; COMPUTE_PGM_RSRC2:TGID_Y_EN: 0
; COMPUTE_PGM_RSRC2:TGID_Z_EN: 0
; COMPUTE_PGM_RSRC2:TIDIG_COMP_CNT: 0
; COMPUTE_PGM_RSRC3_GFX90A:ACCUM_OFFSET: 0
; COMPUTE_PGM_RSRC3_GFX90A:TG_SPLIT: 0
	.section	.text._Z20warp_exchange_kernelILj1024ELj5ELj8ELN6hipcub21WarpExchangeAlgorithmE0E18StripedToBlockedOpiEvPT4_S4_,"axG",@progbits,_Z20warp_exchange_kernelILj1024ELj5ELj8ELN6hipcub21WarpExchangeAlgorithmE0E18StripedToBlockedOpiEvPT4_S4_,comdat
	.protected	_Z20warp_exchange_kernelILj1024ELj5ELj8ELN6hipcub21WarpExchangeAlgorithmE0E18StripedToBlockedOpiEvPT4_S4_ ; -- Begin function _Z20warp_exchange_kernelILj1024ELj5ELj8ELN6hipcub21WarpExchangeAlgorithmE0E18StripedToBlockedOpiEvPT4_S4_
	.globl	_Z20warp_exchange_kernelILj1024ELj5ELj8ELN6hipcub21WarpExchangeAlgorithmE0E18StripedToBlockedOpiEvPT4_S4_
	.p2align	8
	.type	_Z20warp_exchange_kernelILj1024ELj5ELj8ELN6hipcub21WarpExchangeAlgorithmE0E18StripedToBlockedOpiEvPT4_S4_,@function
_Z20warp_exchange_kernelILj1024ELj5ELj8ELN6hipcub21WarpExchangeAlgorithmE0E18StripedToBlockedOpiEvPT4_S4_: ; @_Z20warp_exchange_kernelILj1024ELj5ELj8ELN6hipcub21WarpExchangeAlgorithmE0E18StripedToBlockedOpiEvPT4_S4_
; %bb.0:
	s_load_dwordx4 s[0:3], s[4:5], 0x0
	v_mul_u32_u24_e32 v1, 5, v0
	v_lshlrev_b32_e32 v6, 2, v1
	v_mbcnt_lo_u32_b32 v7, -1, 0
	v_lshrrev_b32_e32 v0, 3, v0
	s_waitcnt lgkmcnt(0)
	global_load_dwordx4 v[2:5], v6, s[0:1]
	global_load_dword v1, v6, s[0:1] offset:16
	v_mbcnt_hi_u32_b32 v7, -1, v7
	v_mul_u32_u24_e32 v0, 0xa0, v0
	v_and_b32_e32 v7, 7, v7
	v_lshl_or_b32 v0, v7, 2, v0
	v_lshl_add_u32 v7, v7, 4, v0
	s_waitcnt vmcnt(1)
	ds_write2_b32 v0, v2, v3 offset1:8
	ds_write2_b32 v0, v4, v5 offset0:16 offset1:24
	s_waitcnt vmcnt(0)
	ds_write_b32 v0, v1 offset:128
	; wave barrier
	ds_read2_b32 v[0:1], v7 offset1:1
	ds_read2_b32 v[2:3], v7 offset0:2 offset1:3
	ds_read_b32 v4, v7 offset:16
	s_waitcnt lgkmcnt(1)
	global_store_dwordx4 v6, v[0:3], s[2:3]
	s_waitcnt lgkmcnt(0)
	global_store_dword v6, v4, s[2:3] offset:16
	s_endpgm
	.section	.rodata,"a",@progbits
	.p2align	6, 0x0
	.amdhsa_kernel _Z20warp_exchange_kernelILj1024ELj5ELj8ELN6hipcub21WarpExchangeAlgorithmE0E18StripedToBlockedOpiEvPT4_S4_
		.amdhsa_group_segment_fixed_size 20480
		.amdhsa_private_segment_fixed_size 0
		.amdhsa_kernarg_size 16
		.amdhsa_user_sgpr_count 6
		.amdhsa_user_sgpr_private_segment_buffer 1
		.amdhsa_user_sgpr_dispatch_ptr 0
		.amdhsa_user_sgpr_queue_ptr 0
		.amdhsa_user_sgpr_kernarg_segment_ptr 1
		.amdhsa_user_sgpr_dispatch_id 0
		.amdhsa_user_sgpr_flat_scratch_init 0
		.amdhsa_user_sgpr_kernarg_preload_length 0
		.amdhsa_user_sgpr_kernarg_preload_offset 0
		.amdhsa_user_sgpr_private_segment_size 0
		.amdhsa_uses_dynamic_stack 0
		.amdhsa_system_sgpr_private_segment_wavefront_offset 0
		.amdhsa_system_sgpr_workgroup_id_x 1
		.amdhsa_system_sgpr_workgroup_id_y 0
		.amdhsa_system_sgpr_workgroup_id_z 0
		.amdhsa_system_sgpr_workgroup_info 0
		.amdhsa_system_vgpr_workitem_id 0
		.amdhsa_next_free_vgpr 8
		.amdhsa_next_free_sgpr 6
		.amdhsa_accum_offset 8
		.amdhsa_reserve_vcc 0
		.amdhsa_reserve_flat_scratch 0
		.amdhsa_float_round_mode_32 0
		.amdhsa_float_round_mode_16_64 0
		.amdhsa_float_denorm_mode_32 3
		.amdhsa_float_denorm_mode_16_64 3
		.amdhsa_dx10_clamp 1
		.amdhsa_ieee_mode 1
		.amdhsa_fp16_overflow 0
		.amdhsa_tg_split 0
		.amdhsa_exception_fp_ieee_invalid_op 0
		.amdhsa_exception_fp_denorm_src 0
		.amdhsa_exception_fp_ieee_div_zero 0
		.amdhsa_exception_fp_ieee_overflow 0
		.amdhsa_exception_fp_ieee_underflow 0
		.amdhsa_exception_fp_ieee_inexact 0
		.amdhsa_exception_int_div_zero 0
	.end_amdhsa_kernel
	.section	.text._Z20warp_exchange_kernelILj1024ELj5ELj8ELN6hipcub21WarpExchangeAlgorithmE0E18StripedToBlockedOpiEvPT4_S4_,"axG",@progbits,_Z20warp_exchange_kernelILj1024ELj5ELj8ELN6hipcub21WarpExchangeAlgorithmE0E18StripedToBlockedOpiEvPT4_S4_,comdat
.Lfunc_end33:
	.size	_Z20warp_exchange_kernelILj1024ELj5ELj8ELN6hipcub21WarpExchangeAlgorithmE0E18StripedToBlockedOpiEvPT4_S4_, .Lfunc_end33-_Z20warp_exchange_kernelILj1024ELj5ELj8ELN6hipcub21WarpExchangeAlgorithmE0E18StripedToBlockedOpiEvPT4_S4_
                                        ; -- End function
	.section	.AMDGPU.csdata,"",@progbits
; Kernel info:
; codeLenInByte = 168
; NumSgprs: 10
; NumVgprs: 8
; NumAgprs: 0
; TotalNumVgprs: 8
; ScratchSize: 0
; MemoryBound: 0
; FloatMode: 240
; IeeeMode: 1
; LDSByteSize: 20480 bytes/workgroup (compile time only)
; SGPRBlocks: 1
; VGPRBlocks: 0
; NumSGPRsForWavesPerEU: 10
; NumVGPRsForWavesPerEU: 8
; AccumOffset: 8
; Occupancy: 8
; WaveLimiterHint : 0
; COMPUTE_PGM_RSRC2:SCRATCH_EN: 0
; COMPUTE_PGM_RSRC2:USER_SGPR: 6
; COMPUTE_PGM_RSRC2:TRAP_HANDLER: 0
; COMPUTE_PGM_RSRC2:TGID_X_EN: 1
; COMPUTE_PGM_RSRC2:TGID_Y_EN: 0
; COMPUTE_PGM_RSRC2:TGID_Z_EN: 0
; COMPUTE_PGM_RSRC2:TIDIG_COMP_CNT: 0
; COMPUTE_PGM_RSRC3_GFX90A:ACCUM_OFFSET: 1
; COMPUTE_PGM_RSRC3_GFX90A:TG_SPLIT: 0
	.section	.text._Z20warp_exchange_kernelILj1024ELj4ELj8ELN6hipcub21WarpExchangeAlgorithmE0E18StripedToBlockedOpiEvPT4_S4_,"axG",@progbits,_Z20warp_exchange_kernelILj1024ELj4ELj8ELN6hipcub21WarpExchangeAlgorithmE0E18StripedToBlockedOpiEvPT4_S4_,comdat
	.protected	_Z20warp_exchange_kernelILj1024ELj4ELj8ELN6hipcub21WarpExchangeAlgorithmE0E18StripedToBlockedOpiEvPT4_S4_ ; -- Begin function _Z20warp_exchange_kernelILj1024ELj4ELj8ELN6hipcub21WarpExchangeAlgorithmE0E18StripedToBlockedOpiEvPT4_S4_
	.globl	_Z20warp_exchange_kernelILj1024ELj4ELj8ELN6hipcub21WarpExchangeAlgorithmE0E18StripedToBlockedOpiEvPT4_S4_
	.p2align	8
	.type	_Z20warp_exchange_kernelILj1024ELj4ELj8ELN6hipcub21WarpExchangeAlgorithmE0E18StripedToBlockedOpiEvPT4_S4_,@function
_Z20warp_exchange_kernelILj1024ELj4ELj8ELN6hipcub21WarpExchangeAlgorithmE0E18StripedToBlockedOpiEvPT4_S4_: ; @_Z20warp_exchange_kernelILj1024ELj4ELj8ELN6hipcub21WarpExchangeAlgorithmE0E18StripedToBlockedOpiEvPT4_S4_
; %bb.0:
	s_load_dwordx4 s[0:3], s[4:5], 0x0
	v_lshlrev_b32_e32 v4, 4, v0
	v_mbcnt_lo_u32_b32 v5, -1, 0
	v_mbcnt_hi_u32_b32 v5, -1, v5
	v_and_b32_e32 v5, 7, v5
	s_waitcnt lgkmcnt(0)
	global_load_dwordx4 v[0:3], v4, s[0:1]
	s_movk_i32 s0, 0x3f80
	v_lshlrev_b32_e32 v6, 2, v5
	v_and_or_b32 v6, v4, s0, v6
	v_mad_u32_u24 v5, v5, 12, v6
	s_waitcnt vmcnt(0)
	ds_write2_b32 v6, v0, v1 offset1:8
	ds_write2_b32 v6, v2, v3 offset0:16 offset1:24
	; wave barrier
	ds_read_b128 v[0:3], v5
	s_waitcnt lgkmcnt(0)
	global_store_dwordx4 v4, v[0:3], s[2:3]
	s_endpgm
	.section	.rodata,"a",@progbits
	.p2align	6, 0x0
	.amdhsa_kernel _Z20warp_exchange_kernelILj1024ELj4ELj8ELN6hipcub21WarpExchangeAlgorithmE0E18StripedToBlockedOpiEvPT4_S4_
		.amdhsa_group_segment_fixed_size 16384
		.amdhsa_private_segment_fixed_size 0
		.amdhsa_kernarg_size 16
		.amdhsa_user_sgpr_count 6
		.amdhsa_user_sgpr_private_segment_buffer 1
		.amdhsa_user_sgpr_dispatch_ptr 0
		.amdhsa_user_sgpr_queue_ptr 0
		.amdhsa_user_sgpr_kernarg_segment_ptr 1
		.amdhsa_user_sgpr_dispatch_id 0
		.amdhsa_user_sgpr_flat_scratch_init 0
		.amdhsa_user_sgpr_kernarg_preload_length 0
		.amdhsa_user_sgpr_kernarg_preload_offset 0
		.amdhsa_user_sgpr_private_segment_size 0
		.amdhsa_uses_dynamic_stack 0
		.amdhsa_system_sgpr_private_segment_wavefront_offset 0
		.amdhsa_system_sgpr_workgroup_id_x 1
		.amdhsa_system_sgpr_workgroup_id_y 0
		.amdhsa_system_sgpr_workgroup_id_z 0
		.amdhsa_system_sgpr_workgroup_info 0
		.amdhsa_system_vgpr_workitem_id 0
		.amdhsa_next_free_vgpr 7
		.amdhsa_next_free_sgpr 6
		.amdhsa_accum_offset 8
		.amdhsa_reserve_vcc 0
		.amdhsa_reserve_flat_scratch 0
		.amdhsa_float_round_mode_32 0
		.amdhsa_float_round_mode_16_64 0
		.amdhsa_float_denorm_mode_32 3
		.amdhsa_float_denorm_mode_16_64 3
		.amdhsa_dx10_clamp 1
		.amdhsa_ieee_mode 1
		.amdhsa_fp16_overflow 0
		.amdhsa_tg_split 0
		.amdhsa_exception_fp_ieee_invalid_op 0
		.amdhsa_exception_fp_denorm_src 0
		.amdhsa_exception_fp_ieee_div_zero 0
		.amdhsa_exception_fp_ieee_overflow 0
		.amdhsa_exception_fp_ieee_underflow 0
		.amdhsa_exception_fp_ieee_inexact 0
		.amdhsa_exception_int_div_zero 0
	.end_amdhsa_kernel
	.section	.text._Z20warp_exchange_kernelILj1024ELj4ELj8ELN6hipcub21WarpExchangeAlgorithmE0E18StripedToBlockedOpiEvPT4_S4_,"axG",@progbits,_Z20warp_exchange_kernelILj1024ELj4ELj8ELN6hipcub21WarpExchangeAlgorithmE0E18StripedToBlockedOpiEvPT4_S4_,comdat
.Lfunc_end34:
	.size	_Z20warp_exchange_kernelILj1024ELj4ELj8ELN6hipcub21WarpExchangeAlgorithmE0E18StripedToBlockedOpiEvPT4_S4_, .Lfunc_end34-_Z20warp_exchange_kernelILj1024ELj4ELj8ELN6hipcub21WarpExchangeAlgorithmE0E18StripedToBlockedOpiEvPT4_S4_
                                        ; -- End function
	.section	.AMDGPU.csdata,"",@progbits
; Kernel info:
; codeLenInByte = 112
; NumSgprs: 10
; NumVgprs: 7
; NumAgprs: 0
; TotalNumVgprs: 7
; ScratchSize: 0
; MemoryBound: 0
; FloatMode: 240
; IeeeMode: 1
; LDSByteSize: 16384 bytes/workgroup (compile time only)
; SGPRBlocks: 1
; VGPRBlocks: 0
; NumSGPRsForWavesPerEU: 10
; NumVGPRsForWavesPerEU: 7
; AccumOffset: 8
; Occupancy: 8
; WaveLimiterHint : 0
; COMPUTE_PGM_RSRC2:SCRATCH_EN: 0
; COMPUTE_PGM_RSRC2:USER_SGPR: 6
; COMPUTE_PGM_RSRC2:TRAP_HANDLER: 0
; COMPUTE_PGM_RSRC2:TGID_X_EN: 1
; COMPUTE_PGM_RSRC2:TGID_Y_EN: 0
; COMPUTE_PGM_RSRC2:TGID_Z_EN: 0
; COMPUTE_PGM_RSRC2:TIDIG_COMP_CNT: 0
; COMPUTE_PGM_RSRC3_GFX90A:ACCUM_OFFSET: 1
; COMPUTE_PGM_RSRC3_GFX90A:TG_SPLIT: 0
	.section	.text._Z20warp_exchange_kernelILj1024ELj1ELj8ELN6hipcub21WarpExchangeAlgorithmE0E18StripedToBlockedOpiEvPT4_S4_,"axG",@progbits,_Z20warp_exchange_kernelILj1024ELj1ELj8ELN6hipcub21WarpExchangeAlgorithmE0E18StripedToBlockedOpiEvPT4_S4_,comdat
	.protected	_Z20warp_exchange_kernelILj1024ELj1ELj8ELN6hipcub21WarpExchangeAlgorithmE0E18StripedToBlockedOpiEvPT4_S4_ ; -- Begin function _Z20warp_exchange_kernelILj1024ELj1ELj8ELN6hipcub21WarpExchangeAlgorithmE0E18StripedToBlockedOpiEvPT4_S4_
	.globl	_Z20warp_exchange_kernelILj1024ELj1ELj8ELN6hipcub21WarpExchangeAlgorithmE0E18StripedToBlockedOpiEvPT4_S4_
	.p2align	8
	.type	_Z20warp_exchange_kernelILj1024ELj1ELj8ELN6hipcub21WarpExchangeAlgorithmE0E18StripedToBlockedOpiEvPT4_S4_,@function
_Z20warp_exchange_kernelILj1024ELj1ELj8ELN6hipcub21WarpExchangeAlgorithmE0E18StripedToBlockedOpiEvPT4_S4_: ; @_Z20warp_exchange_kernelILj1024ELj1ELj8ELN6hipcub21WarpExchangeAlgorithmE0E18StripedToBlockedOpiEvPT4_S4_
; %bb.0:
	s_load_dwordx4 s[0:3], s[4:5], 0x0
	v_lshlrev_b32_e32 v0, 2, v0
	v_mbcnt_lo_u32_b32 v2, -1, 0
	v_mbcnt_hi_u32_b32 v2, -1, v2
	v_and_b32_e32 v2, 7, v2
	s_waitcnt lgkmcnt(0)
	global_load_dword v1, v0, s[0:1]
	s_movk_i32 s0, 0xfe0
	v_lshlrev_b32_e32 v2, 2, v2
	v_and_or_b32 v2, v0, s0, v2
	s_waitcnt vmcnt(0)
	ds_write_b32 v2, v1
	; wave barrier
	ds_read_b32 v1, v2
	s_waitcnt lgkmcnt(0)
	global_store_dword v0, v1, s[2:3]
	s_endpgm
	.section	.rodata,"a",@progbits
	.p2align	6, 0x0
	.amdhsa_kernel _Z20warp_exchange_kernelILj1024ELj1ELj8ELN6hipcub21WarpExchangeAlgorithmE0E18StripedToBlockedOpiEvPT4_S4_
		.amdhsa_group_segment_fixed_size 4096
		.amdhsa_private_segment_fixed_size 0
		.amdhsa_kernarg_size 16
		.amdhsa_user_sgpr_count 6
		.amdhsa_user_sgpr_private_segment_buffer 1
		.amdhsa_user_sgpr_dispatch_ptr 0
		.amdhsa_user_sgpr_queue_ptr 0
		.amdhsa_user_sgpr_kernarg_segment_ptr 1
		.amdhsa_user_sgpr_dispatch_id 0
		.amdhsa_user_sgpr_flat_scratch_init 0
		.amdhsa_user_sgpr_kernarg_preload_length 0
		.amdhsa_user_sgpr_kernarg_preload_offset 0
		.amdhsa_user_sgpr_private_segment_size 0
		.amdhsa_uses_dynamic_stack 0
		.amdhsa_system_sgpr_private_segment_wavefront_offset 0
		.amdhsa_system_sgpr_workgroup_id_x 1
		.amdhsa_system_sgpr_workgroup_id_y 0
		.amdhsa_system_sgpr_workgroup_id_z 0
		.amdhsa_system_sgpr_workgroup_info 0
		.amdhsa_system_vgpr_workitem_id 0
		.amdhsa_next_free_vgpr 3
		.amdhsa_next_free_sgpr 6
		.amdhsa_accum_offset 4
		.amdhsa_reserve_vcc 0
		.amdhsa_reserve_flat_scratch 0
		.amdhsa_float_round_mode_32 0
		.amdhsa_float_round_mode_16_64 0
		.amdhsa_float_denorm_mode_32 3
		.amdhsa_float_denorm_mode_16_64 3
		.amdhsa_dx10_clamp 1
		.amdhsa_ieee_mode 1
		.amdhsa_fp16_overflow 0
		.amdhsa_tg_split 0
		.amdhsa_exception_fp_ieee_invalid_op 0
		.amdhsa_exception_fp_denorm_src 0
		.amdhsa_exception_fp_ieee_div_zero 0
		.amdhsa_exception_fp_ieee_overflow 0
		.amdhsa_exception_fp_ieee_underflow 0
		.amdhsa_exception_fp_ieee_inexact 0
		.amdhsa_exception_int_div_zero 0
	.end_amdhsa_kernel
	.section	.text._Z20warp_exchange_kernelILj1024ELj1ELj8ELN6hipcub21WarpExchangeAlgorithmE0E18StripedToBlockedOpiEvPT4_S4_,"axG",@progbits,_Z20warp_exchange_kernelILj1024ELj1ELj8ELN6hipcub21WarpExchangeAlgorithmE0E18StripedToBlockedOpiEvPT4_S4_,comdat
.Lfunc_end35:
	.size	_Z20warp_exchange_kernelILj1024ELj1ELj8ELN6hipcub21WarpExchangeAlgorithmE0E18StripedToBlockedOpiEvPT4_S4_, .Lfunc_end35-_Z20warp_exchange_kernelILj1024ELj1ELj8ELN6hipcub21WarpExchangeAlgorithmE0E18StripedToBlockedOpiEvPT4_S4_
                                        ; -- End function
	.section	.AMDGPU.csdata,"",@progbits
; Kernel info:
; codeLenInByte = 96
; NumSgprs: 10
; NumVgprs: 3
; NumAgprs: 0
; TotalNumVgprs: 3
; ScratchSize: 0
; MemoryBound: 0
; FloatMode: 240
; IeeeMode: 1
; LDSByteSize: 4096 bytes/workgroup (compile time only)
; SGPRBlocks: 1
; VGPRBlocks: 0
; NumSGPRsForWavesPerEU: 10
; NumVGPRsForWavesPerEU: 3
; AccumOffset: 4
; Occupancy: 8
; WaveLimiterHint : 0
; COMPUTE_PGM_RSRC2:SCRATCH_EN: 0
; COMPUTE_PGM_RSRC2:USER_SGPR: 6
; COMPUTE_PGM_RSRC2:TRAP_HANDLER: 0
; COMPUTE_PGM_RSRC2:TGID_X_EN: 1
; COMPUTE_PGM_RSRC2:TGID_Y_EN: 0
; COMPUTE_PGM_RSRC2:TGID_Z_EN: 0
; COMPUTE_PGM_RSRC2:TIDIG_COMP_CNT: 0
; COMPUTE_PGM_RSRC3_GFX90A:ACCUM_OFFSET: 0
; COMPUTE_PGM_RSRC3_GFX90A:TG_SPLIT: 0
	.section	.text._Z20warp_exchange_kernelILj1024ELj5ELj64ELN6hipcub21WarpExchangeAlgorithmE0E18StripedToBlockedOpcEvPT4_S4_,"axG",@progbits,_Z20warp_exchange_kernelILj1024ELj5ELj64ELN6hipcub21WarpExchangeAlgorithmE0E18StripedToBlockedOpcEvPT4_S4_,comdat
	.protected	_Z20warp_exchange_kernelILj1024ELj5ELj64ELN6hipcub21WarpExchangeAlgorithmE0E18StripedToBlockedOpcEvPT4_S4_ ; -- Begin function _Z20warp_exchange_kernelILj1024ELj5ELj64ELN6hipcub21WarpExchangeAlgorithmE0E18StripedToBlockedOpcEvPT4_S4_
	.globl	_Z20warp_exchange_kernelILj1024ELj5ELj64ELN6hipcub21WarpExchangeAlgorithmE0E18StripedToBlockedOpcEvPT4_S4_
	.p2align	8
	.type	_Z20warp_exchange_kernelILj1024ELj5ELj64ELN6hipcub21WarpExchangeAlgorithmE0E18StripedToBlockedOpcEvPT4_S4_,@function
_Z20warp_exchange_kernelILj1024ELj5ELj64ELN6hipcub21WarpExchangeAlgorithmE0E18StripedToBlockedOpcEvPT4_S4_: ; @_Z20warp_exchange_kernelILj1024ELj5ELj64ELN6hipcub21WarpExchangeAlgorithmE0E18StripedToBlockedOpcEvPT4_S4_
; %bb.0:
	s_load_dwordx4 s[0:3], s[4:5], 0x0
	v_mul_u32_u24_e32 v1, 5, v0
	v_mbcnt_lo_u32_b32 v4, -1, 0
	v_lshrrev_b32_e32 v0, 6, v0
	v_mbcnt_hi_u32_b32 v4, -1, v4
	s_waitcnt lgkmcnt(0)
	global_load_dword v2, v1, s[0:1]
	global_load_sbyte v3, v1, s[0:1] offset:4
	s_movk_i32 s0, 0x140
	v_mad_u32_u24 v5, v0, s0, v4
	v_mul_u32_u24_e32 v4, 5, v4
	v_mad_u32_u24 v0, v0, s0, v4
	s_waitcnt vmcnt(1)
	v_lshrrev_b32_e32 v4, 8, v2
	v_lshrrev_b32_e32 v6, 24, v2
	ds_write_b8 v5, v2
	ds_write_b8_d16_hi v5, v2 offset:128
	s_waitcnt vmcnt(0)
	ds_write_b8 v5, v3 offset:256
	ds_write_b8 v5, v4 offset:64
	;; [unrolled: 1-line block ×3, first 2 shown]
	; wave barrier
	ds_read_u8 v2, v0 offset:4
	ds_read_b32 v0, v0
	s_waitcnt lgkmcnt(1)
	global_store_byte v1, v2, s[2:3] offset:4
	s_waitcnt lgkmcnt(0)
	global_store_dword v1, v0, s[2:3]
	s_endpgm
	.section	.rodata,"a",@progbits
	.p2align	6, 0x0
	.amdhsa_kernel _Z20warp_exchange_kernelILj1024ELj5ELj64ELN6hipcub21WarpExchangeAlgorithmE0E18StripedToBlockedOpcEvPT4_S4_
		.amdhsa_group_segment_fixed_size 5120
		.amdhsa_private_segment_fixed_size 0
		.amdhsa_kernarg_size 16
		.amdhsa_user_sgpr_count 6
		.amdhsa_user_sgpr_private_segment_buffer 1
		.amdhsa_user_sgpr_dispatch_ptr 0
		.amdhsa_user_sgpr_queue_ptr 0
		.amdhsa_user_sgpr_kernarg_segment_ptr 1
		.amdhsa_user_sgpr_dispatch_id 0
		.amdhsa_user_sgpr_flat_scratch_init 0
		.amdhsa_user_sgpr_kernarg_preload_length 0
		.amdhsa_user_sgpr_kernarg_preload_offset 0
		.amdhsa_user_sgpr_private_segment_size 0
		.amdhsa_uses_dynamic_stack 0
		.amdhsa_system_sgpr_private_segment_wavefront_offset 0
		.amdhsa_system_sgpr_workgroup_id_x 1
		.amdhsa_system_sgpr_workgroup_id_y 0
		.amdhsa_system_sgpr_workgroup_id_z 0
		.amdhsa_system_sgpr_workgroup_info 0
		.amdhsa_system_vgpr_workitem_id 0
		.amdhsa_next_free_vgpr 7
		.amdhsa_next_free_sgpr 6
		.amdhsa_accum_offset 8
		.amdhsa_reserve_vcc 0
		.amdhsa_reserve_flat_scratch 0
		.amdhsa_float_round_mode_32 0
		.amdhsa_float_round_mode_16_64 0
		.amdhsa_float_denorm_mode_32 3
		.amdhsa_float_denorm_mode_16_64 3
		.amdhsa_dx10_clamp 1
		.amdhsa_ieee_mode 1
		.amdhsa_fp16_overflow 0
		.amdhsa_tg_split 0
		.amdhsa_exception_fp_ieee_invalid_op 0
		.amdhsa_exception_fp_denorm_src 0
		.amdhsa_exception_fp_ieee_div_zero 0
		.amdhsa_exception_fp_ieee_overflow 0
		.amdhsa_exception_fp_ieee_underflow 0
		.amdhsa_exception_fp_ieee_inexact 0
		.amdhsa_exception_int_div_zero 0
	.end_amdhsa_kernel
	.section	.text._Z20warp_exchange_kernelILj1024ELj5ELj64ELN6hipcub21WarpExchangeAlgorithmE0E18StripedToBlockedOpcEvPT4_S4_,"axG",@progbits,_Z20warp_exchange_kernelILj1024ELj5ELj64ELN6hipcub21WarpExchangeAlgorithmE0E18StripedToBlockedOpcEvPT4_S4_,comdat
.Lfunc_end36:
	.size	_Z20warp_exchange_kernelILj1024ELj5ELj64ELN6hipcub21WarpExchangeAlgorithmE0E18StripedToBlockedOpcEvPT4_S4_, .Lfunc_end36-_Z20warp_exchange_kernelILj1024ELj5ELj64ELN6hipcub21WarpExchangeAlgorithmE0E18StripedToBlockedOpcEvPT4_S4_
                                        ; -- End function
	.section	.AMDGPU.csdata,"",@progbits
; Kernel info:
; codeLenInByte = 176
; NumSgprs: 10
; NumVgprs: 7
; NumAgprs: 0
; TotalNumVgprs: 7
; ScratchSize: 0
; MemoryBound: 0
; FloatMode: 240
; IeeeMode: 1
; LDSByteSize: 5120 bytes/workgroup (compile time only)
; SGPRBlocks: 1
; VGPRBlocks: 0
; NumSGPRsForWavesPerEU: 10
; NumVGPRsForWavesPerEU: 7
; AccumOffset: 8
; Occupancy: 8
; WaveLimiterHint : 0
; COMPUTE_PGM_RSRC2:SCRATCH_EN: 0
; COMPUTE_PGM_RSRC2:USER_SGPR: 6
; COMPUTE_PGM_RSRC2:TRAP_HANDLER: 0
; COMPUTE_PGM_RSRC2:TGID_X_EN: 1
; COMPUTE_PGM_RSRC2:TGID_Y_EN: 0
; COMPUTE_PGM_RSRC2:TGID_Z_EN: 0
; COMPUTE_PGM_RSRC2:TIDIG_COMP_CNT: 0
; COMPUTE_PGM_RSRC3_GFX90A:ACCUM_OFFSET: 1
; COMPUTE_PGM_RSRC3_GFX90A:TG_SPLIT: 0
	.section	.text._Z20warp_exchange_kernelILj1024ELj4ELj64ELN6hipcub21WarpExchangeAlgorithmE0E18StripedToBlockedOpcEvPT4_S4_,"axG",@progbits,_Z20warp_exchange_kernelILj1024ELj4ELj64ELN6hipcub21WarpExchangeAlgorithmE0E18StripedToBlockedOpcEvPT4_S4_,comdat
	.protected	_Z20warp_exchange_kernelILj1024ELj4ELj64ELN6hipcub21WarpExchangeAlgorithmE0E18StripedToBlockedOpcEvPT4_S4_ ; -- Begin function _Z20warp_exchange_kernelILj1024ELj4ELj64ELN6hipcub21WarpExchangeAlgorithmE0E18StripedToBlockedOpcEvPT4_S4_
	.globl	_Z20warp_exchange_kernelILj1024ELj4ELj64ELN6hipcub21WarpExchangeAlgorithmE0E18StripedToBlockedOpcEvPT4_S4_
	.p2align	8
	.type	_Z20warp_exchange_kernelILj1024ELj4ELj64ELN6hipcub21WarpExchangeAlgorithmE0E18StripedToBlockedOpcEvPT4_S4_,@function
_Z20warp_exchange_kernelILj1024ELj4ELj64ELN6hipcub21WarpExchangeAlgorithmE0E18StripedToBlockedOpcEvPT4_S4_: ; @_Z20warp_exchange_kernelILj1024ELj4ELj64ELN6hipcub21WarpExchangeAlgorithmE0E18StripedToBlockedOpcEvPT4_S4_
; %bb.0:
	s_load_dwordx4 s[0:3], s[4:5], 0x0
	v_lshlrev_b32_e32 v0, 2, v0
	v_mbcnt_lo_u32_b32 v2, -1, 0
	v_mbcnt_hi_u32_b32 v2, -1, v2
	v_and_b32_e32 v3, 0xf00, v0
	s_waitcnt lgkmcnt(0)
	global_load_dword v1, v0, s[0:1]
	v_or_b32_e32 v4, v3, v2
	v_lshl_add_u32 v2, v2, 2, v3
	s_waitcnt vmcnt(0)
	v_lshrrev_b32_e32 v3, 8, v1
	v_lshrrev_b32_e32 v5, 24, v1
	ds_write_b8 v4, v1
	ds_write_b8_d16_hi v4, v1 offset:128
	ds_write_b8 v4, v3 offset:64
	ds_write_b8 v4, v5 offset:192
	; wave barrier
	ds_read_b32 v1, v2
	s_waitcnt lgkmcnt(0)
	global_store_dword v0, v1, s[2:3]
	s_endpgm
	.section	.rodata,"a",@progbits
	.p2align	6, 0x0
	.amdhsa_kernel _Z20warp_exchange_kernelILj1024ELj4ELj64ELN6hipcub21WarpExchangeAlgorithmE0E18StripedToBlockedOpcEvPT4_S4_
		.amdhsa_group_segment_fixed_size 4096
		.amdhsa_private_segment_fixed_size 0
		.amdhsa_kernarg_size 16
		.amdhsa_user_sgpr_count 6
		.amdhsa_user_sgpr_private_segment_buffer 1
		.amdhsa_user_sgpr_dispatch_ptr 0
		.amdhsa_user_sgpr_queue_ptr 0
		.amdhsa_user_sgpr_kernarg_segment_ptr 1
		.amdhsa_user_sgpr_dispatch_id 0
		.amdhsa_user_sgpr_flat_scratch_init 0
		.amdhsa_user_sgpr_kernarg_preload_length 0
		.amdhsa_user_sgpr_kernarg_preload_offset 0
		.amdhsa_user_sgpr_private_segment_size 0
		.amdhsa_uses_dynamic_stack 0
		.amdhsa_system_sgpr_private_segment_wavefront_offset 0
		.amdhsa_system_sgpr_workgroup_id_x 1
		.amdhsa_system_sgpr_workgroup_id_y 0
		.amdhsa_system_sgpr_workgroup_id_z 0
		.amdhsa_system_sgpr_workgroup_info 0
		.amdhsa_system_vgpr_workitem_id 0
		.amdhsa_next_free_vgpr 6
		.amdhsa_next_free_sgpr 6
		.amdhsa_accum_offset 8
		.amdhsa_reserve_vcc 0
		.amdhsa_reserve_flat_scratch 0
		.amdhsa_float_round_mode_32 0
		.amdhsa_float_round_mode_16_64 0
		.amdhsa_float_denorm_mode_32 3
		.amdhsa_float_denorm_mode_16_64 3
		.amdhsa_dx10_clamp 1
		.amdhsa_ieee_mode 1
		.amdhsa_fp16_overflow 0
		.amdhsa_tg_split 0
		.amdhsa_exception_fp_ieee_invalid_op 0
		.amdhsa_exception_fp_denorm_src 0
		.amdhsa_exception_fp_ieee_div_zero 0
		.amdhsa_exception_fp_ieee_overflow 0
		.amdhsa_exception_fp_ieee_underflow 0
		.amdhsa_exception_fp_ieee_inexact 0
		.amdhsa_exception_int_div_zero 0
	.end_amdhsa_kernel
	.section	.text._Z20warp_exchange_kernelILj1024ELj4ELj64ELN6hipcub21WarpExchangeAlgorithmE0E18StripedToBlockedOpcEvPT4_S4_,"axG",@progbits,_Z20warp_exchange_kernelILj1024ELj4ELj64ELN6hipcub21WarpExchangeAlgorithmE0E18StripedToBlockedOpcEvPT4_S4_,comdat
.Lfunc_end37:
	.size	_Z20warp_exchange_kernelILj1024ELj4ELj64ELN6hipcub21WarpExchangeAlgorithmE0E18StripedToBlockedOpcEvPT4_S4_, .Lfunc_end37-_Z20warp_exchange_kernelILj1024ELj4ELj64ELN6hipcub21WarpExchangeAlgorithmE0E18StripedToBlockedOpcEvPT4_S4_
                                        ; -- End function
	.section	.AMDGPU.csdata,"",@progbits
; Kernel info:
; codeLenInByte = 128
; NumSgprs: 10
; NumVgprs: 6
; NumAgprs: 0
; TotalNumVgprs: 6
; ScratchSize: 0
; MemoryBound: 0
; FloatMode: 240
; IeeeMode: 1
; LDSByteSize: 4096 bytes/workgroup (compile time only)
; SGPRBlocks: 1
; VGPRBlocks: 0
; NumSGPRsForWavesPerEU: 10
; NumVGPRsForWavesPerEU: 6
; AccumOffset: 8
; Occupancy: 8
; WaveLimiterHint : 0
; COMPUTE_PGM_RSRC2:SCRATCH_EN: 0
; COMPUTE_PGM_RSRC2:USER_SGPR: 6
; COMPUTE_PGM_RSRC2:TRAP_HANDLER: 0
; COMPUTE_PGM_RSRC2:TGID_X_EN: 1
; COMPUTE_PGM_RSRC2:TGID_Y_EN: 0
; COMPUTE_PGM_RSRC2:TGID_Z_EN: 0
; COMPUTE_PGM_RSRC2:TIDIG_COMP_CNT: 0
; COMPUTE_PGM_RSRC3_GFX90A:ACCUM_OFFSET: 1
; COMPUTE_PGM_RSRC3_GFX90A:TG_SPLIT: 0
	.section	.text._Z20warp_exchange_kernelILj1024ELj1ELj64ELN6hipcub21WarpExchangeAlgorithmE0E18StripedToBlockedOpcEvPT4_S4_,"axG",@progbits,_Z20warp_exchange_kernelILj1024ELj1ELj64ELN6hipcub21WarpExchangeAlgorithmE0E18StripedToBlockedOpcEvPT4_S4_,comdat
	.protected	_Z20warp_exchange_kernelILj1024ELj1ELj64ELN6hipcub21WarpExchangeAlgorithmE0E18StripedToBlockedOpcEvPT4_S4_ ; -- Begin function _Z20warp_exchange_kernelILj1024ELj1ELj64ELN6hipcub21WarpExchangeAlgorithmE0E18StripedToBlockedOpcEvPT4_S4_
	.globl	_Z20warp_exchange_kernelILj1024ELj1ELj64ELN6hipcub21WarpExchangeAlgorithmE0E18StripedToBlockedOpcEvPT4_S4_
	.p2align	8
	.type	_Z20warp_exchange_kernelILj1024ELj1ELj64ELN6hipcub21WarpExchangeAlgorithmE0E18StripedToBlockedOpcEvPT4_S4_,@function
_Z20warp_exchange_kernelILj1024ELj1ELj64ELN6hipcub21WarpExchangeAlgorithmE0E18StripedToBlockedOpcEvPT4_S4_: ; @_Z20warp_exchange_kernelILj1024ELj1ELj64ELN6hipcub21WarpExchangeAlgorithmE0E18StripedToBlockedOpcEvPT4_S4_
; %bb.0:
	s_load_dwordx4 s[0:3], s[4:5], 0x0
	v_mbcnt_lo_u32_b32 v2, -1, 0
	v_and_b32_e32 v3, 0x3c0, v0
	v_mbcnt_hi_u32_b32 v2, -1, v2
	v_add_u32_e32 v2, v3, v2
	s_waitcnt lgkmcnt(0)
	global_load_ubyte v1, v0, s[0:1]
	s_waitcnt vmcnt(0)
	ds_write_b8 v2, v1
	; wave barrier
	ds_read_u8 v1, v2
	s_waitcnt lgkmcnt(0)
	global_store_byte v0, v1, s[2:3]
	s_endpgm
	.section	.rodata,"a",@progbits
	.p2align	6, 0x0
	.amdhsa_kernel _Z20warp_exchange_kernelILj1024ELj1ELj64ELN6hipcub21WarpExchangeAlgorithmE0E18StripedToBlockedOpcEvPT4_S4_
		.amdhsa_group_segment_fixed_size 1024
		.amdhsa_private_segment_fixed_size 0
		.amdhsa_kernarg_size 16
		.amdhsa_user_sgpr_count 6
		.amdhsa_user_sgpr_private_segment_buffer 1
		.amdhsa_user_sgpr_dispatch_ptr 0
		.amdhsa_user_sgpr_queue_ptr 0
		.amdhsa_user_sgpr_kernarg_segment_ptr 1
		.amdhsa_user_sgpr_dispatch_id 0
		.amdhsa_user_sgpr_flat_scratch_init 0
		.amdhsa_user_sgpr_kernarg_preload_length 0
		.amdhsa_user_sgpr_kernarg_preload_offset 0
		.amdhsa_user_sgpr_private_segment_size 0
		.amdhsa_uses_dynamic_stack 0
		.amdhsa_system_sgpr_private_segment_wavefront_offset 0
		.amdhsa_system_sgpr_workgroup_id_x 1
		.amdhsa_system_sgpr_workgroup_id_y 0
		.amdhsa_system_sgpr_workgroup_id_z 0
		.amdhsa_system_sgpr_workgroup_info 0
		.amdhsa_system_vgpr_workitem_id 0
		.amdhsa_next_free_vgpr 4
		.amdhsa_next_free_sgpr 6
		.amdhsa_accum_offset 4
		.amdhsa_reserve_vcc 0
		.amdhsa_reserve_flat_scratch 0
		.amdhsa_float_round_mode_32 0
		.amdhsa_float_round_mode_16_64 0
		.amdhsa_float_denorm_mode_32 3
		.amdhsa_float_denorm_mode_16_64 3
		.amdhsa_dx10_clamp 1
		.amdhsa_ieee_mode 1
		.amdhsa_fp16_overflow 0
		.amdhsa_tg_split 0
		.amdhsa_exception_fp_ieee_invalid_op 0
		.amdhsa_exception_fp_denorm_src 0
		.amdhsa_exception_fp_ieee_div_zero 0
		.amdhsa_exception_fp_ieee_overflow 0
		.amdhsa_exception_fp_ieee_underflow 0
		.amdhsa_exception_fp_ieee_inexact 0
		.amdhsa_exception_int_div_zero 0
	.end_amdhsa_kernel
	.section	.text._Z20warp_exchange_kernelILj1024ELj1ELj64ELN6hipcub21WarpExchangeAlgorithmE0E18StripedToBlockedOpcEvPT4_S4_,"axG",@progbits,_Z20warp_exchange_kernelILj1024ELj1ELj64ELN6hipcub21WarpExchangeAlgorithmE0E18StripedToBlockedOpcEvPT4_S4_,comdat
.Lfunc_end38:
	.size	_Z20warp_exchange_kernelILj1024ELj1ELj64ELN6hipcub21WarpExchangeAlgorithmE0E18StripedToBlockedOpcEvPT4_S4_, .Lfunc_end38-_Z20warp_exchange_kernelILj1024ELj1ELj64ELN6hipcub21WarpExchangeAlgorithmE0E18StripedToBlockedOpcEvPT4_S4_
                                        ; -- End function
	.section	.AMDGPU.csdata,"",@progbits
; Kernel info:
; codeLenInByte = 84
; NumSgprs: 10
; NumVgprs: 4
; NumAgprs: 0
; TotalNumVgprs: 4
; ScratchSize: 0
; MemoryBound: 0
; FloatMode: 240
; IeeeMode: 1
; LDSByteSize: 1024 bytes/workgroup (compile time only)
; SGPRBlocks: 1
; VGPRBlocks: 0
; NumSGPRsForWavesPerEU: 10
; NumVGPRsForWavesPerEU: 4
; AccumOffset: 4
; Occupancy: 8
; WaveLimiterHint : 0
; COMPUTE_PGM_RSRC2:SCRATCH_EN: 0
; COMPUTE_PGM_RSRC2:USER_SGPR: 6
; COMPUTE_PGM_RSRC2:TRAP_HANDLER: 0
; COMPUTE_PGM_RSRC2:TGID_X_EN: 1
; COMPUTE_PGM_RSRC2:TGID_Y_EN: 0
; COMPUTE_PGM_RSRC2:TGID_Z_EN: 0
; COMPUTE_PGM_RSRC2:TIDIG_COMP_CNT: 0
; COMPUTE_PGM_RSRC3_GFX90A:ACCUM_OFFSET: 0
; COMPUTE_PGM_RSRC3_GFX90A:TG_SPLIT: 0
	.section	.text._Z20warp_exchange_kernelILj1024ELj5ELj32ELN6hipcub21WarpExchangeAlgorithmE0E18StripedToBlockedOpcEvPT4_S4_,"axG",@progbits,_Z20warp_exchange_kernelILj1024ELj5ELj32ELN6hipcub21WarpExchangeAlgorithmE0E18StripedToBlockedOpcEvPT4_S4_,comdat
	.protected	_Z20warp_exchange_kernelILj1024ELj5ELj32ELN6hipcub21WarpExchangeAlgorithmE0E18StripedToBlockedOpcEvPT4_S4_ ; -- Begin function _Z20warp_exchange_kernelILj1024ELj5ELj32ELN6hipcub21WarpExchangeAlgorithmE0E18StripedToBlockedOpcEvPT4_S4_
	.globl	_Z20warp_exchange_kernelILj1024ELj5ELj32ELN6hipcub21WarpExchangeAlgorithmE0E18StripedToBlockedOpcEvPT4_S4_
	.p2align	8
	.type	_Z20warp_exchange_kernelILj1024ELj5ELj32ELN6hipcub21WarpExchangeAlgorithmE0E18StripedToBlockedOpcEvPT4_S4_,@function
_Z20warp_exchange_kernelILj1024ELj5ELj32ELN6hipcub21WarpExchangeAlgorithmE0E18StripedToBlockedOpcEvPT4_S4_: ; @_Z20warp_exchange_kernelILj1024ELj5ELj32ELN6hipcub21WarpExchangeAlgorithmE0E18StripedToBlockedOpcEvPT4_S4_
; %bb.0:
	s_load_dwordx4 s[0:3], s[4:5], 0x0
	v_mul_u32_u24_e32 v1, 5, v0
	v_mbcnt_lo_u32_b32 v4, -1, 0
	v_lshrrev_b32_e32 v0, 5, v0
	v_mbcnt_hi_u32_b32 v4, -1, v4
	s_waitcnt lgkmcnt(0)
	global_load_dword v2, v1, s[0:1]
	global_load_sbyte v3, v1, s[0:1] offset:4
	v_mul_u32_u24_e32 v5, 0xa0, v0
	v_and_b32_e32 v4, 31, v4
	s_movk_i32 s0, 0xa0
	v_or_b32_e32 v5, v5, v4
	v_mul_u32_u24_e32 v4, 5, v4
	v_mad_u32_u24 v0, v0, s0, v4
	s_waitcnt vmcnt(1)
	v_lshrrev_b32_e32 v4, 8, v2
	v_lshrrev_b32_e32 v6, 24, v2
	ds_write_b8 v5, v2
	ds_write_b8_d16_hi v5, v2 offset:64
	s_waitcnt vmcnt(0)
	ds_write_b8 v5, v3 offset:128
	ds_write_b8 v5, v4 offset:32
	;; [unrolled: 1-line block ×3, first 2 shown]
	; wave barrier
	ds_read_u8 v2, v0 offset:4
	ds_read_b32 v0, v0
	s_waitcnt lgkmcnt(1)
	global_store_byte v1, v2, s[2:3] offset:4
	s_waitcnt lgkmcnt(0)
	global_store_dword v1, v0, s[2:3]
	s_endpgm
	.section	.rodata,"a",@progbits
	.p2align	6, 0x0
	.amdhsa_kernel _Z20warp_exchange_kernelILj1024ELj5ELj32ELN6hipcub21WarpExchangeAlgorithmE0E18StripedToBlockedOpcEvPT4_S4_
		.amdhsa_group_segment_fixed_size 5120
		.amdhsa_private_segment_fixed_size 0
		.amdhsa_kernarg_size 16
		.amdhsa_user_sgpr_count 6
		.amdhsa_user_sgpr_private_segment_buffer 1
		.amdhsa_user_sgpr_dispatch_ptr 0
		.amdhsa_user_sgpr_queue_ptr 0
		.amdhsa_user_sgpr_kernarg_segment_ptr 1
		.amdhsa_user_sgpr_dispatch_id 0
		.amdhsa_user_sgpr_flat_scratch_init 0
		.amdhsa_user_sgpr_kernarg_preload_length 0
		.amdhsa_user_sgpr_kernarg_preload_offset 0
		.amdhsa_user_sgpr_private_segment_size 0
		.amdhsa_uses_dynamic_stack 0
		.amdhsa_system_sgpr_private_segment_wavefront_offset 0
		.amdhsa_system_sgpr_workgroup_id_x 1
		.amdhsa_system_sgpr_workgroup_id_y 0
		.amdhsa_system_sgpr_workgroup_id_z 0
		.amdhsa_system_sgpr_workgroup_info 0
		.amdhsa_system_vgpr_workitem_id 0
		.amdhsa_next_free_vgpr 7
		.amdhsa_next_free_sgpr 6
		.amdhsa_accum_offset 8
		.amdhsa_reserve_vcc 0
		.amdhsa_reserve_flat_scratch 0
		.amdhsa_float_round_mode_32 0
		.amdhsa_float_round_mode_16_64 0
		.amdhsa_float_denorm_mode_32 3
		.amdhsa_float_denorm_mode_16_64 3
		.amdhsa_dx10_clamp 1
		.amdhsa_ieee_mode 1
		.amdhsa_fp16_overflow 0
		.amdhsa_tg_split 0
		.amdhsa_exception_fp_ieee_invalid_op 0
		.amdhsa_exception_fp_denorm_src 0
		.amdhsa_exception_fp_ieee_div_zero 0
		.amdhsa_exception_fp_ieee_overflow 0
		.amdhsa_exception_fp_ieee_underflow 0
		.amdhsa_exception_fp_ieee_inexact 0
		.amdhsa_exception_int_div_zero 0
	.end_amdhsa_kernel
	.section	.text._Z20warp_exchange_kernelILj1024ELj5ELj32ELN6hipcub21WarpExchangeAlgorithmE0E18StripedToBlockedOpcEvPT4_S4_,"axG",@progbits,_Z20warp_exchange_kernelILj1024ELj5ELj32ELN6hipcub21WarpExchangeAlgorithmE0E18StripedToBlockedOpcEvPT4_S4_,comdat
.Lfunc_end39:
	.size	_Z20warp_exchange_kernelILj1024ELj5ELj32ELN6hipcub21WarpExchangeAlgorithmE0E18StripedToBlockedOpcEvPT4_S4_, .Lfunc_end39-_Z20warp_exchange_kernelILj1024ELj5ELj32ELN6hipcub21WarpExchangeAlgorithmE0E18StripedToBlockedOpcEvPT4_S4_
                                        ; -- End function
	.section	.AMDGPU.csdata,"",@progbits
; Kernel info:
; codeLenInByte = 184
; NumSgprs: 10
; NumVgprs: 7
; NumAgprs: 0
; TotalNumVgprs: 7
; ScratchSize: 0
; MemoryBound: 0
; FloatMode: 240
; IeeeMode: 1
; LDSByteSize: 5120 bytes/workgroup (compile time only)
; SGPRBlocks: 1
; VGPRBlocks: 0
; NumSGPRsForWavesPerEU: 10
; NumVGPRsForWavesPerEU: 7
; AccumOffset: 8
; Occupancy: 8
; WaveLimiterHint : 0
; COMPUTE_PGM_RSRC2:SCRATCH_EN: 0
; COMPUTE_PGM_RSRC2:USER_SGPR: 6
; COMPUTE_PGM_RSRC2:TRAP_HANDLER: 0
; COMPUTE_PGM_RSRC2:TGID_X_EN: 1
; COMPUTE_PGM_RSRC2:TGID_Y_EN: 0
; COMPUTE_PGM_RSRC2:TGID_Z_EN: 0
; COMPUTE_PGM_RSRC2:TIDIG_COMP_CNT: 0
; COMPUTE_PGM_RSRC3_GFX90A:ACCUM_OFFSET: 1
; COMPUTE_PGM_RSRC3_GFX90A:TG_SPLIT: 0
	.section	.text._Z20warp_exchange_kernelILj1024ELj4ELj32ELN6hipcub21WarpExchangeAlgorithmE0E18StripedToBlockedOpcEvPT4_S4_,"axG",@progbits,_Z20warp_exchange_kernelILj1024ELj4ELj32ELN6hipcub21WarpExchangeAlgorithmE0E18StripedToBlockedOpcEvPT4_S4_,comdat
	.protected	_Z20warp_exchange_kernelILj1024ELj4ELj32ELN6hipcub21WarpExchangeAlgorithmE0E18StripedToBlockedOpcEvPT4_S4_ ; -- Begin function _Z20warp_exchange_kernelILj1024ELj4ELj32ELN6hipcub21WarpExchangeAlgorithmE0E18StripedToBlockedOpcEvPT4_S4_
	.globl	_Z20warp_exchange_kernelILj1024ELj4ELj32ELN6hipcub21WarpExchangeAlgorithmE0E18StripedToBlockedOpcEvPT4_S4_
	.p2align	8
	.type	_Z20warp_exchange_kernelILj1024ELj4ELj32ELN6hipcub21WarpExchangeAlgorithmE0E18StripedToBlockedOpcEvPT4_S4_,@function
_Z20warp_exchange_kernelILj1024ELj4ELj32ELN6hipcub21WarpExchangeAlgorithmE0E18StripedToBlockedOpcEvPT4_S4_: ; @_Z20warp_exchange_kernelILj1024ELj4ELj32ELN6hipcub21WarpExchangeAlgorithmE0E18StripedToBlockedOpcEvPT4_S4_
; %bb.0:
	s_load_dwordx4 s[0:3], s[4:5], 0x0
	v_lshlrev_b32_e32 v0, 2, v0
	v_mbcnt_lo_u32_b32 v2, -1, 0
	v_mbcnt_hi_u32_b32 v2, -1, v2
	v_and_b32_e32 v3, 0xf80, v0
	s_waitcnt lgkmcnt(0)
	global_load_dword v1, v0, s[0:1]
	v_and_b32_e32 v2, 31, v2
	v_or_b32_e32 v4, v3, v2
	v_lshl_or_b32 v2, v2, 2, v3
	s_waitcnt vmcnt(0)
	v_lshrrev_b32_e32 v3, 8, v1
	v_lshrrev_b32_e32 v5, 24, v1
	ds_write_b8 v4, v1
	ds_write_b8_d16_hi v4, v1 offset:64
	ds_write_b8 v4, v3 offset:32
	ds_write_b8 v4, v5 offset:96
	; wave barrier
	ds_read_b32 v1, v2
	s_waitcnt lgkmcnt(0)
	global_store_dword v0, v1, s[2:3]
	s_endpgm
	.section	.rodata,"a",@progbits
	.p2align	6, 0x0
	.amdhsa_kernel _Z20warp_exchange_kernelILj1024ELj4ELj32ELN6hipcub21WarpExchangeAlgorithmE0E18StripedToBlockedOpcEvPT4_S4_
		.amdhsa_group_segment_fixed_size 4096
		.amdhsa_private_segment_fixed_size 0
		.amdhsa_kernarg_size 16
		.amdhsa_user_sgpr_count 6
		.amdhsa_user_sgpr_private_segment_buffer 1
		.amdhsa_user_sgpr_dispatch_ptr 0
		.amdhsa_user_sgpr_queue_ptr 0
		.amdhsa_user_sgpr_kernarg_segment_ptr 1
		.amdhsa_user_sgpr_dispatch_id 0
		.amdhsa_user_sgpr_flat_scratch_init 0
		.amdhsa_user_sgpr_kernarg_preload_length 0
		.amdhsa_user_sgpr_kernarg_preload_offset 0
		.amdhsa_user_sgpr_private_segment_size 0
		.amdhsa_uses_dynamic_stack 0
		.amdhsa_system_sgpr_private_segment_wavefront_offset 0
		.amdhsa_system_sgpr_workgroup_id_x 1
		.amdhsa_system_sgpr_workgroup_id_y 0
		.amdhsa_system_sgpr_workgroup_id_z 0
		.amdhsa_system_sgpr_workgroup_info 0
		.amdhsa_system_vgpr_workitem_id 0
		.amdhsa_next_free_vgpr 6
		.amdhsa_next_free_sgpr 6
		.amdhsa_accum_offset 8
		.amdhsa_reserve_vcc 0
		.amdhsa_reserve_flat_scratch 0
		.amdhsa_float_round_mode_32 0
		.amdhsa_float_round_mode_16_64 0
		.amdhsa_float_denorm_mode_32 3
		.amdhsa_float_denorm_mode_16_64 3
		.amdhsa_dx10_clamp 1
		.amdhsa_ieee_mode 1
		.amdhsa_fp16_overflow 0
		.amdhsa_tg_split 0
		.amdhsa_exception_fp_ieee_invalid_op 0
		.amdhsa_exception_fp_denorm_src 0
		.amdhsa_exception_fp_ieee_div_zero 0
		.amdhsa_exception_fp_ieee_overflow 0
		.amdhsa_exception_fp_ieee_underflow 0
		.amdhsa_exception_fp_ieee_inexact 0
		.amdhsa_exception_int_div_zero 0
	.end_amdhsa_kernel
	.section	.text._Z20warp_exchange_kernelILj1024ELj4ELj32ELN6hipcub21WarpExchangeAlgorithmE0E18StripedToBlockedOpcEvPT4_S4_,"axG",@progbits,_Z20warp_exchange_kernelILj1024ELj4ELj32ELN6hipcub21WarpExchangeAlgorithmE0E18StripedToBlockedOpcEvPT4_S4_,comdat
.Lfunc_end40:
	.size	_Z20warp_exchange_kernelILj1024ELj4ELj32ELN6hipcub21WarpExchangeAlgorithmE0E18StripedToBlockedOpcEvPT4_S4_, .Lfunc_end40-_Z20warp_exchange_kernelILj1024ELj4ELj32ELN6hipcub21WarpExchangeAlgorithmE0E18StripedToBlockedOpcEvPT4_S4_
                                        ; -- End function
	.section	.AMDGPU.csdata,"",@progbits
; Kernel info:
; codeLenInByte = 132
; NumSgprs: 10
; NumVgprs: 6
; NumAgprs: 0
; TotalNumVgprs: 6
; ScratchSize: 0
; MemoryBound: 0
; FloatMode: 240
; IeeeMode: 1
; LDSByteSize: 4096 bytes/workgroup (compile time only)
; SGPRBlocks: 1
; VGPRBlocks: 0
; NumSGPRsForWavesPerEU: 10
; NumVGPRsForWavesPerEU: 6
; AccumOffset: 8
; Occupancy: 8
; WaveLimiterHint : 0
; COMPUTE_PGM_RSRC2:SCRATCH_EN: 0
; COMPUTE_PGM_RSRC2:USER_SGPR: 6
; COMPUTE_PGM_RSRC2:TRAP_HANDLER: 0
; COMPUTE_PGM_RSRC2:TGID_X_EN: 1
; COMPUTE_PGM_RSRC2:TGID_Y_EN: 0
; COMPUTE_PGM_RSRC2:TGID_Z_EN: 0
; COMPUTE_PGM_RSRC2:TIDIG_COMP_CNT: 0
; COMPUTE_PGM_RSRC3_GFX90A:ACCUM_OFFSET: 1
; COMPUTE_PGM_RSRC3_GFX90A:TG_SPLIT: 0
	.section	.text._Z20warp_exchange_kernelILj1024ELj1ELj32ELN6hipcub21WarpExchangeAlgorithmE0E18StripedToBlockedOpcEvPT4_S4_,"axG",@progbits,_Z20warp_exchange_kernelILj1024ELj1ELj32ELN6hipcub21WarpExchangeAlgorithmE0E18StripedToBlockedOpcEvPT4_S4_,comdat
	.protected	_Z20warp_exchange_kernelILj1024ELj1ELj32ELN6hipcub21WarpExchangeAlgorithmE0E18StripedToBlockedOpcEvPT4_S4_ ; -- Begin function _Z20warp_exchange_kernelILj1024ELj1ELj32ELN6hipcub21WarpExchangeAlgorithmE0E18StripedToBlockedOpcEvPT4_S4_
	.globl	_Z20warp_exchange_kernelILj1024ELj1ELj32ELN6hipcub21WarpExchangeAlgorithmE0E18StripedToBlockedOpcEvPT4_S4_
	.p2align	8
	.type	_Z20warp_exchange_kernelILj1024ELj1ELj32ELN6hipcub21WarpExchangeAlgorithmE0E18StripedToBlockedOpcEvPT4_S4_,@function
_Z20warp_exchange_kernelILj1024ELj1ELj32ELN6hipcub21WarpExchangeAlgorithmE0E18StripedToBlockedOpcEvPT4_S4_: ; @_Z20warp_exchange_kernelILj1024ELj1ELj32ELN6hipcub21WarpExchangeAlgorithmE0E18StripedToBlockedOpcEvPT4_S4_
; %bb.0:
	s_load_dwordx4 s[0:3], s[4:5], 0x0
	v_mbcnt_lo_u32_b32 v2, -1, 0
	v_mbcnt_hi_u32_b32 v2, -1, v2
	v_and_b32_e32 v2, 31, v2
	s_waitcnt lgkmcnt(0)
	global_load_ubyte v1, v0, s[0:1]
	s_movk_i32 s0, 0x3e0
	v_and_or_b32 v2, v0, s0, v2
	s_waitcnt vmcnt(0)
	ds_write_b8 v2, v1
	; wave barrier
	ds_read_u8 v1, v2
	s_waitcnt lgkmcnt(0)
	global_store_byte v0, v1, s[2:3]
	s_endpgm
	.section	.rodata,"a",@progbits
	.p2align	6, 0x0
	.amdhsa_kernel _Z20warp_exchange_kernelILj1024ELj1ELj32ELN6hipcub21WarpExchangeAlgorithmE0E18StripedToBlockedOpcEvPT4_S4_
		.amdhsa_group_segment_fixed_size 1024
		.amdhsa_private_segment_fixed_size 0
		.amdhsa_kernarg_size 16
		.amdhsa_user_sgpr_count 6
		.amdhsa_user_sgpr_private_segment_buffer 1
		.amdhsa_user_sgpr_dispatch_ptr 0
		.amdhsa_user_sgpr_queue_ptr 0
		.amdhsa_user_sgpr_kernarg_segment_ptr 1
		.amdhsa_user_sgpr_dispatch_id 0
		.amdhsa_user_sgpr_flat_scratch_init 0
		.amdhsa_user_sgpr_kernarg_preload_length 0
		.amdhsa_user_sgpr_kernarg_preload_offset 0
		.amdhsa_user_sgpr_private_segment_size 0
		.amdhsa_uses_dynamic_stack 0
		.amdhsa_system_sgpr_private_segment_wavefront_offset 0
		.amdhsa_system_sgpr_workgroup_id_x 1
		.amdhsa_system_sgpr_workgroup_id_y 0
		.amdhsa_system_sgpr_workgroup_id_z 0
		.amdhsa_system_sgpr_workgroup_info 0
		.amdhsa_system_vgpr_workitem_id 0
		.amdhsa_next_free_vgpr 3
		.amdhsa_next_free_sgpr 6
		.amdhsa_accum_offset 4
		.amdhsa_reserve_vcc 0
		.amdhsa_reserve_flat_scratch 0
		.amdhsa_float_round_mode_32 0
		.amdhsa_float_round_mode_16_64 0
		.amdhsa_float_denorm_mode_32 3
		.amdhsa_float_denorm_mode_16_64 3
		.amdhsa_dx10_clamp 1
		.amdhsa_ieee_mode 1
		.amdhsa_fp16_overflow 0
		.amdhsa_tg_split 0
		.amdhsa_exception_fp_ieee_invalid_op 0
		.amdhsa_exception_fp_denorm_src 0
		.amdhsa_exception_fp_ieee_div_zero 0
		.amdhsa_exception_fp_ieee_overflow 0
		.amdhsa_exception_fp_ieee_underflow 0
		.amdhsa_exception_fp_ieee_inexact 0
		.amdhsa_exception_int_div_zero 0
	.end_amdhsa_kernel
	.section	.text._Z20warp_exchange_kernelILj1024ELj1ELj32ELN6hipcub21WarpExchangeAlgorithmE0E18StripedToBlockedOpcEvPT4_S4_,"axG",@progbits,_Z20warp_exchange_kernelILj1024ELj1ELj32ELN6hipcub21WarpExchangeAlgorithmE0E18StripedToBlockedOpcEvPT4_S4_,comdat
.Lfunc_end41:
	.size	_Z20warp_exchange_kernelILj1024ELj1ELj32ELN6hipcub21WarpExchangeAlgorithmE0E18StripedToBlockedOpcEvPT4_S4_, .Lfunc_end41-_Z20warp_exchange_kernelILj1024ELj1ELj32ELN6hipcub21WarpExchangeAlgorithmE0E18StripedToBlockedOpcEvPT4_S4_
                                        ; -- End function
	.section	.AMDGPU.csdata,"",@progbits
; Kernel info:
; codeLenInByte = 88
; NumSgprs: 10
; NumVgprs: 3
; NumAgprs: 0
; TotalNumVgprs: 3
; ScratchSize: 0
; MemoryBound: 0
; FloatMode: 240
; IeeeMode: 1
; LDSByteSize: 1024 bytes/workgroup (compile time only)
; SGPRBlocks: 1
; VGPRBlocks: 0
; NumSGPRsForWavesPerEU: 10
; NumVGPRsForWavesPerEU: 3
; AccumOffset: 4
; Occupancy: 8
; WaveLimiterHint : 0
; COMPUTE_PGM_RSRC2:SCRATCH_EN: 0
; COMPUTE_PGM_RSRC2:USER_SGPR: 6
; COMPUTE_PGM_RSRC2:TRAP_HANDLER: 0
; COMPUTE_PGM_RSRC2:TGID_X_EN: 1
; COMPUTE_PGM_RSRC2:TGID_Y_EN: 0
; COMPUTE_PGM_RSRC2:TGID_Z_EN: 0
; COMPUTE_PGM_RSRC2:TIDIG_COMP_CNT: 0
; COMPUTE_PGM_RSRC3_GFX90A:ACCUM_OFFSET: 0
; COMPUTE_PGM_RSRC3_GFX90A:TG_SPLIT: 0
	.section	.text._Z20warp_exchange_kernelILj1024ELj5ELj16ELN6hipcub21WarpExchangeAlgorithmE0E18StripedToBlockedOpcEvPT4_S4_,"axG",@progbits,_Z20warp_exchange_kernelILj1024ELj5ELj16ELN6hipcub21WarpExchangeAlgorithmE0E18StripedToBlockedOpcEvPT4_S4_,comdat
	.protected	_Z20warp_exchange_kernelILj1024ELj5ELj16ELN6hipcub21WarpExchangeAlgorithmE0E18StripedToBlockedOpcEvPT4_S4_ ; -- Begin function _Z20warp_exchange_kernelILj1024ELj5ELj16ELN6hipcub21WarpExchangeAlgorithmE0E18StripedToBlockedOpcEvPT4_S4_
	.globl	_Z20warp_exchange_kernelILj1024ELj5ELj16ELN6hipcub21WarpExchangeAlgorithmE0E18StripedToBlockedOpcEvPT4_S4_
	.p2align	8
	.type	_Z20warp_exchange_kernelILj1024ELj5ELj16ELN6hipcub21WarpExchangeAlgorithmE0E18StripedToBlockedOpcEvPT4_S4_,@function
_Z20warp_exchange_kernelILj1024ELj5ELj16ELN6hipcub21WarpExchangeAlgorithmE0E18StripedToBlockedOpcEvPT4_S4_: ; @_Z20warp_exchange_kernelILj1024ELj5ELj16ELN6hipcub21WarpExchangeAlgorithmE0E18StripedToBlockedOpcEvPT4_S4_
; %bb.0:
	s_load_dwordx4 s[0:3], s[4:5], 0x0
	v_mul_u32_u24_e32 v1, 5, v0
	v_mbcnt_lo_u32_b32 v4, -1, 0
	v_lshrrev_b32_e32 v0, 4, v0
	v_mbcnt_hi_u32_b32 v4, -1, v4
	s_waitcnt lgkmcnt(0)
	global_load_dword v2, v1, s[0:1]
	global_load_sbyte v3, v1, s[0:1] offset:4
	v_mul_u32_u24_e32 v5, 0x50, v0
	v_and_b32_e32 v4, 15, v4
	s_movk_i32 s0, 0x50
	v_or_b32_e32 v5, v5, v4
	v_mul_u32_u24_e32 v4, 5, v4
	v_mad_u32_u24 v0, v0, s0, v4
	s_waitcnt vmcnt(1)
	v_lshrrev_b32_e32 v4, 8, v2
	v_lshrrev_b32_e32 v6, 24, v2
	ds_write_b8 v5, v2
	ds_write_b8_d16_hi v5, v2 offset:32
	s_waitcnt vmcnt(0)
	ds_write_b8 v5, v3 offset:64
	ds_write_b8 v5, v4 offset:16
	;; [unrolled: 1-line block ×3, first 2 shown]
	; wave barrier
	ds_read_u8 v2, v0 offset:4
	ds_read_b32 v0, v0
	s_waitcnt lgkmcnt(1)
	global_store_byte v1, v2, s[2:3] offset:4
	s_waitcnt lgkmcnt(0)
	global_store_dword v1, v0, s[2:3]
	s_endpgm
	.section	.rodata,"a",@progbits
	.p2align	6, 0x0
	.amdhsa_kernel _Z20warp_exchange_kernelILj1024ELj5ELj16ELN6hipcub21WarpExchangeAlgorithmE0E18StripedToBlockedOpcEvPT4_S4_
		.amdhsa_group_segment_fixed_size 5120
		.amdhsa_private_segment_fixed_size 0
		.amdhsa_kernarg_size 16
		.amdhsa_user_sgpr_count 6
		.amdhsa_user_sgpr_private_segment_buffer 1
		.amdhsa_user_sgpr_dispatch_ptr 0
		.amdhsa_user_sgpr_queue_ptr 0
		.amdhsa_user_sgpr_kernarg_segment_ptr 1
		.amdhsa_user_sgpr_dispatch_id 0
		.amdhsa_user_sgpr_flat_scratch_init 0
		.amdhsa_user_sgpr_kernarg_preload_length 0
		.amdhsa_user_sgpr_kernarg_preload_offset 0
		.amdhsa_user_sgpr_private_segment_size 0
		.amdhsa_uses_dynamic_stack 0
		.amdhsa_system_sgpr_private_segment_wavefront_offset 0
		.amdhsa_system_sgpr_workgroup_id_x 1
		.amdhsa_system_sgpr_workgroup_id_y 0
		.amdhsa_system_sgpr_workgroup_id_z 0
		.amdhsa_system_sgpr_workgroup_info 0
		.amdhsa_system_vgpr_workitem_id 0
		.amdhsa_next_free_vgpr 7
		.amdhsa_next_free_sgpr 6
		.amdhsa_accum_offset 8
		.amdhsa_reserve_vcc 0
		.amdhsa_reserve_flat_scratch 0
		.amdhsa_float_round_mode_32 0
		.amdhsa_float_round_mode_16_64 0
		.amdhsa_float_denorm_mode_32 3
		.amdhsa_float_denorm_mode_16_64 3
		.amdhsa_dx10_clamp 1
		.amdhsa_ieee_mode 1
		.amdhsa_fp16_overflow 0
		.amdhsa_tg_split 0
		.amdhsa_exception_fp_ieee_invalid_op 0
		.amdhsa_exception_fp_denorm_src 0
		.amdhsa_exception_fp_ieee_div_zero 0
		.amdhsa_exception_fp_ieee_overflow 0
		.amdhsa_exception_fp_ieee_underflow 0
		.amdhsa_exception_fp_ieee_inexact 0
		.amdhsa_exception_int_div_zero 0
	.end_amdhsa_kernel
	.section	.text._Z20warp_exchange_kernelILj1024ELj5ELj16ELN6hipcub21WarpExchangeAlgorithmE0E18StripedToBlockedOpcEvPT4_S4_,"axG",@progbits,_Z20warp_exchange_kernelILj1024ELj5ELj16ELN6hipcub21WarpExchangeAlgorithmE0E18StripedToBlockedOpcEvPT4_S4_,comdat
.Lfunc_end42:
	.size	_Z20warp_exchange_kernelILj1024ELj5ELj16ELN6hipcub21WarpExchangeAlgorithmE0E18StripedToBlockedOpcEvPT4_S4_, .Lfunc_end42-_Z20warp_exchange_kernelILj1024ELj5ELj16ELN6hipcub21WarpExchangeAlgorithmE0E18StripedToBlockedOpcEvPT4_S4_
                                        ; -- End function
	.section	.AMDGPU.csdata,"",@progbits
; Kernel info:
; codeLenInByte = 184
; NumSgprs: 10
; NumVgprs: 7
; NumAgprs: 0
; TotalNumVgprs: 7
; ScratchSize: 0
; MemoryBound: 0
; FloatMode: 240
; IeeeMode: 1
; LDSByteSize: 5120 bytes/workgroup (compile time only)
; SGPRBlocks: 1
; VGPRBlocks: 0
; NumSGPRsForWavesPerEU: 10
; NumVGPRsForWavesPerEU: 7
; AccumOffset: 8
; Occupancy: 8
; WaveLimiterHint : 0
; COMPUTE_PGM_RSRC2:SCRATCH_EN: 0
; COMPUTE_PGM_RSRC2:USER_SGPR: 6
; COMPUTE_PGM_RSRC2:TRAP_HANDLER: 0
; COMPUTE_PGM_RSRC2:TGID_X_EN: 1
; COMPUTE_PGM_RSRC2:TGID_Y_EN: 0
; COMPUTE_PGM_RSRC2:TGID_Z_EN: 0
; COMPUTE_PGM_RSRC2:TIDIG_COMP_CNT: 0
; COMPUTE_PGM_RSRC3_GFX90A:ACCUM_OFFSET: 1
; COMPUTE_PGM_RSRC3_GFX90A:TG_SPLIT: 0
	.section	.text._Z20warp_exchange_kernelILj1024ELj4ELj16ELN6hipcub21WarpExchangeAlgorithmE0E18StripedToBlockedOpcEvPT4_S4_,"axG",@progbits,_Z20warp_exchange_kernelILj1024ELj4ELj16ELN6hipcub21WarpExchangeAlgorithmE0E18StripedToBlockedOpcEvPT4_S4_,comdat
	.protected	_Z20warp_exchange_kernelILj1024ELj4ELj16ELN6hipcub21WarpExchangeAlgorithmE0E18StripedToBlockedOpcEvPT4_S4_ ; -- Begin function _Z20warp_exchange_kernelILj1024ELj4ELj16ELN6hipcub21WarpExchangeAlgorithmE0E18StripedToBlockedOpcEvPT4_S4_
	.globl	_Z20warp_exchange_kernelILj1024ELj4ELj16ELN6hipcub21WarpExchangeAlgorithmE0E18StripedToBlockedOpcEvPT4_S4_
	.p2align	8
	.type	_Z20warp_exchange_kernelILj1024ELj4ELj16ELN6hipcub21WarpExchangeAlgorithmE0E18StripedToBlockedOpcEvPT4_S4_,@function
_Z20warp_exchange_kernelILj1024ELj4ELj16ELN6hipcub21WarpExchangeAlgorithmE0E18StripedToBlockedOpcEvPT4_S4_: ; @_Z20warp_exchange_kernelILj1024ELj4ELj16ELN6hipcub21WarpExchangeAlgorithmE0E18StripedToBlockedOpcEvPT4_S4_
; %bb.0:
	s_load_dwordx4 s[0:3], s[4:5], 0x0
	v_lshlrev_b32_e32 v0, 2, v0
	v_mbcnt_lo_u32_b32 v2, -1, 0
	v_mbcnt_hi_u32_b32 v2, -1, v2
	v_and_b32_e32 v3, 0xfc0, v0
	s_waitcnt lgkmcnt(0)
	global_load_dword v1, v0, s[0:1]
	v_and_b32_e32 v2, 15, v2
	v_or_b32_e32 v4, v3, v2
	v_lshl_or_b32 v2, v2, 2, v3
	s_waitcnt vmcnt(0)
	v_lshrrev_b32_e32 v3, 8, v1
	v_lshrrev_b32_e32 v5, 24, v1
	ds_write_b8 v4, v1
	ds_write_b8_d16_hi v4, v1 offset:32
	ds_write_b8 v4, v3 offset:16
	ds_write_b8 v4, v5 offset:48
	; wave barrier
	ds_read_b32 v1, v2
	s_waitcnt lgkmcnt(0)
	global_store_dword v0, v1, s[2:3]
	s_endpgm
	.section	.rodata,"a",@progbits
	.p2align	6, 0x0
	.amdhsa_kernel _Z20warp_exchange_kernelILj1024ELj4ELj16ELN6hipcub21WarpExchangeAlgorithmE0E18StripedToBlockedOpcEvPT4_S4_
		.amdhsa_group_segment_fixed_size 4096
		.amdhsa_private_segment_fixed_size 0
		.amdhsa_kernarg_size 16
		.amdhsa_user_sgpr_count 6
		.amdhsa_user_sgpr_private_segment_buffer 1
		.amdhsa_user_sgpr_dispatch_ptr 0
		.amdhsa_user_sgpr_queue_ptr 0
		.amdhsa_user_sgpr_kernarg_segment_ptr 1
		.amdhsa_user_sgpr_dispatch_id 0
		.amdhsa_user_sgpr_flat_scratch_init 0
		.amdhsa_user_sgpr_kernarg_preload_length 0
		.amdhsa_user_sgpr_kernarg_preload_offset 0
		.amdhsa_user_sgpr_private_segment_size 0
		.amdhsa_uses_dynamic_stack 0
		.amdhsa_system_sgpr_private_segment_wavefront_offset 0
		.amdhsa_system_sgpr_workgroup_id_x 1
		.amdhsa_system_sgpr_workgroup_id_y 0
		.amdhsa_system_sgpr_workgroup_id_z 0
		.amdhsa_system_sgpr_workgroup_info 0
		.amdhsa_system_vgpr_workitem_id 0
		.amdhsa_next_free_vgpr 6
		.amdhsa_next_free_sgpr 6
		.amdhsa_accum_offset 8
		.amdhsa_reserve_vcc 0
		.amdhsa_reserve_flat_scratch 0
		.amdhsa_float_round_mode_32 0
		.amdhsa_float_round_mode_16_64 0
		.amdhsa_float_denorm_mode_32 3
		.amdhsa_float_denorm_mode_16_64 3
		.amdhsa_dx10_clamp 1
		.amdhsa_ieee_mode 1
		.amdhsa_fp16_overflow 0
		.amdhsa_tg_split 0
		.amdhsa_exception_fp_ieee_invalid_op 0
		.amdhsa_exception_fp_denorm_src 0
		.amdhsa_exception_fp_ieee_div_zero 0
		.amdhsa_exception_fp_ieee_overflow 0
		.amdhsa_exception_fp_ieee_underflow 0
		.amdhsa_exception_fp_ieee_inexact 0
		.amdhsa_exception_int_div_zero 0
	.end_amdhsa_kernel
	.section	.text._Z20warp_exchange_kernelILj1024ELj4ELj16ELN6hipcub21WarpExchangeAlgorithmE0E18StripedToBlockedOpcEvPT4_S4_,"axG",@progbits,_Z20warp_exchange_kernelILj1024ELj4ELj16ELN6hipcub21WarpExchangeAlgorithmE0E18StripedToBlockedOpcEvPT4_S4_,comdat
.Lfunc_end43:
	.size	_Z20warp_exchange_kernelILj1024ELj4ELj16ELN6hipcub21WarpExchangeAlgorithmE0E18StripedToBlockedOpcEvPT4_S4_, .Lfunc_end43-_Z20warp_exchange_kernelILj1024ELj4ELj16ELN6hipcub21WarpExchangeAlgorithmE0E18StripedToBlockedOpcEvPT4_S4_
                                        ; -- End function
	.section	.AMDGPU.csdata,"",@progbits
; Kernel info:
; codeLenInByte = 132
; NumSgprs: 10
; NumVgprs: 6
; NumAgprs: 0
; TotalNumVgprs: 6
; ScratchSize: 0
; MemoryBound: 0
; FloatMode: 240
; IeeeMode: 1
; LDSByteSize: 4096 bytes/workgroup (compile time only)
; SGPRBlocks: 1
; VGPRBlocks: 0
; NumSGPRsForWavesPerEU: 10
; NumVGPRsForWavesPerEU: 6
; AccumOffset: 8
; Occupancy: 8
; WaveLimiterHint : 0
; COMPUTE_PGM_RSRC2:SCRATCH_EN: 0
; COMPUTE_PGM_RSRC2:USER_SGPR: 6
; COMPUTE_PGM_RSRC2:TRAP_HANDLER: 0
; COMPUTE_PGM_RSRC2:TGID_X_EN: 1
; COMPUTE_PGM_RSRC2:TGID_Y_EN: 0
; COMPUTE_PGM_RSRC2:TGID_Z_EN: 0
; COMPUTE_PGM_RSRC2:TIDIG_COMP_CNT: 0
; COMPUTE_PGM_RSRC3_GFX90A:ACCUM_OFFSET: 1
; COMPUTE_PGM_RSRC3_GFX90A:TG_SPLIT: 0
	.section	.text._Z20warp_exchange_kernelILj1024ELj1ELj16ELN6hipcub21WarpExchangeAlgorithmE0E18StripedToBlockedOpcEvPT4_S4_,"axG",@progbits,_Z20warp_exchange_kernelILj1024ELj1ELj16ELN6hipcub21WarpExchangeAlgorithmE0E18StripedToBlockedOpcEvPT4_S4_,comdat
	.protected	_Z20warp_exchange_kernelILj1024ELj1ELj16ELN6hipcub21WarpExchangeAlgorithmE0E18StripedToBlockedOpcEvPT4_S4_ ; -- Begin function _Z20warp_exchange_kernelILj1024ELj1ELj16ELN6hipcub21WarpExchangeAlgorithmE0E18StripedToBlockedOpcEvPT4_S4_
	.globl	_Z20warp_exchange_kernelILj1024ELj1ELj16ELN6hipcub21WarpExchangeAlgorithmE0E18StripedToBlockedOpcEvPT4_S4_
	.p2align	8
	.type	_Z20warp_exchange_kernelILj1024ELj1ELj16ELN6hipcub21WarpExchangeAlgorithmE0E18StripedToBlockedOpcEvPT4_S4_,@function
_Z20warp_exchange_kernelILj1024ELj1ELj16ELN6hipcub21WarpExchangeAlgorithmE0E18StripedToBlockedOpcEvPT4_S4_: ; @_Z20warp_exchange_kernelILj1024ELj1ELj16ELN6hipcub21WarpExchangeAlgorithmE0E18StripedToBlockedOpcEvPT4_S4_
; %bb.0:
	s_load_dwordx4 s[0:3], s[4:5], 0x0
	v_mbcnt_lo_u32_b32 v2, -1, 0
	v_mbcnt_hi_u32_b32 v2, -1, v2
	v_and_b32_e32 v2, 15, v2
	s_waitcnt lgkmcnt(0)
	global_load_ubyte v1, v0, s[0:1]
	s_movk_i32 s0, 0x3f0
	v_and_or_b32 v2, v0, s0, v2
	s_waitcnt vmcnt(0)
	ds_write_b8 v2, v1
	; wave barrier
	ds_read_u8 v1, v2
	s_waitcnt lgkmcnt(0)
	global_store_byte v0, v1, s[2:3]
	s_endpgm
	.section	.rodata,"a",@progbits
	.p2align	6, 0x0
	.amdhsa_kernel _Z20warp_exchange_kernelILj1024ELj1ELj16ELN6hipcub21WarpExchangeAlgorithmE0E18StripedToBlockedOpcEvPT4_S4_
		.amdhsa_group_segment_fixed_size 1024
		.amdhsa_private_segment_fixed_size 0
		.amdhsa_kernarg_size 16
		.amdhsa_user_sgpr_count 6
		.amdhsa_user_sgpr_private_segment_buffer 1
		.amdhsa_user_sgpr_dispatch_ptr 0
		.amdhsa_user_sgpr_queue_ptr 0
		.amdhsa_user_sgpr_kernarg_segment_ptr 1
		.amdhsa_user_sgpr_dispatch_id 0
		.amdhsa_user_sgpr_flat_scratch_init 0
		.amdhsa_user_sgpr_kernarg_preload_length 0
		.amdhsa_user_sgpr_kernarg_preload_offset 0
		.amdhsa_user_sgpr_private_segment_size 0
		.amdhsa_uses_dynamic_stack 0
		.amdhsa_system_sgpr_private_segment_wavefront_offset 0
		.amdhsa_system_sgpr_workgroup_id_x 1
		.amdhsa_system_sgpr_workgroup_id_y 0
		.amdhsa_system_sgpr_workgroup_id_z 0
		.amdhsa_system_sgpr_workgroup_info 0
		.amdhsa_system_vgpr_workitem_id 0
		.amdhsa_next_free_vgpr 3
		.amdhsa_next_free_sgpr 6
		.amdhsa_accum_offset 4
		.amdhsa_reserve_vcc 0
		.amdhsa_reserve_flat_scratch 0
		.amdhsa_float_round_mode_32 0
		.amdhsa_float_round_mode_16_64 0
		.amdhsa_float_denorm_mode_32 3
		.amdhsa_float_denorm_mode_16_64 3
		.amdhsa_dx10_clamp 1
		.amdhsa_ieee_mode 1
		.amdhsa_fp16_overflow 0
		.amdhsa_tg_split 0
		.amdhsa_exception_fp_ieee_invalid_op 0
		.amdhsa_exception_fp_denorm_src 0
		.amdhsa_exception_fp_ieee_div_zero 0
		.amdhsa_exception_fp_ieee_overflow 0
		.amdhsa_exception_fp_ieee_underflow 0
		.amdhsa_exception_fp_ieee_inexact 0
		.amdhsa_exception_int_div_zero 0
	.end_amdhsa_kernel
	.section	.text._Z20warp_exchange_kernelILj1024ELj1ELj16ELN6hipcub21WarpExchangeAlgorithmE0E18StripedToBlockedOpcEvPT4_S4_,"axG",@progbits,_Z20warp_exchange_kernelILj1024ELj1ELj16ELN6hipcub21WarpExchangeAlgorithmE0E18StripedToBlockedOpcEvPT4_S4_,comdat
.Lfunc_end44:
	.size	_Z20warp_exchange_kernelILj1024ELj1ELj16ELN6hipcub21WarpExchangeAlgorithmE0E18StripedToBlockedOpcEvPT4_S4_, .Lfunc_end44-_Z20warp_exchange_kernelILj1024ELj1ELj16ELN6hipcub21WarpExchangeAlgorithmE0E18StripedToBlockedOpcEvPT4_S4_
                                        ; -- End function
	.section	.AMDGPU.csdata,"",@progbits
; Kernel info:
; codeLenInByte = 88
; NumSgprs: 10
; NumVgprs: 3
; NumAgprs: 0
; TotalNumVgprs: 3
; ScratchSize: 0
; MemoryBound: 0
; FloatMode: 240
; IeeeMode: 1
; LDSByteSize: 1024 bytes/workgroup (compile time only)
; SGPRBlocks: 1
; VGPRBlocks: 0
; NumSGPRsForWavesPerEU: 10
; NumVGPRsForWavesPerEU: 3
; AccumOffset: 4
; Occupancy: 8
; WaveLimiterHint : 0
; COMPUTE_PGM_RSRC2:SCRATCH_EN: 0
; COMPUTE_PGM_RSRC2:USER_SGPR: 6
; COMPUTE_PGM_RSRC2:TRAP_HANDLER: 0
; COMPUTE_PGM_RSRC2:TGID_X_EN: 1
; COMPUTE_PGM_RSRC2:TGID_Y_EN: 0
; COMPUTE_PGM_RSRC2:TGID_Z_EN: 0
; COMPUTE_PGM_RSRC2:TIDIG_COMP_CNT: 0
; COMPUTE_PGM_RSRC3_GFX90A:ACCUM_OFFSET: 0
; COMPUTE_PGM_RSRC3_GFX90A:TG_SPLIT: 0
	.section	.text._Z20warp_exchange_kernelILj1024ELj5ELj8ELN6hipcub21WarpExchangeAlgorithmE0E18StripedToBlockedOpcEvPT4_S4_,"axG",@progbits,_Z20warp_exchange_kernelILj1024ELj5ELj8ELN6hipcub21WarpExchangeAlgorithmE0E18StripedToBlockedOpcEvPT4_S4_,comdat
	.protected	_Z20warp_exchange_kernelILj1024ELj5ELj8ELN6hipcub21WarpExchangeAlgorithmE0E18StripedToBlockedOpcEvPT4_S4_ ; -- Begin function _Z20warp_exchange_kernelILj1024ELj5ELj8ELN6hipcub21WarpExchangeAlgorithmE0E18StripedToBlockedOpcEvPT4_S4_
	.globl	_Z20warp_exchange_kernelILj1024ELj5ELj8ELN6hipcub21WarpExchangeAlgorithmE0E18StripedToBlockedOpcEvPT4_S4_
	.p2align	8
	.type	_Z20warp_exchange_kernelILj1024ELj5ELj8ELN6hipcub21WarpExchangeAlgorithmE0E18StripedToBlockedOpcEvPT4_S4_,@function
_Z20warp_exchange_kernelILj1024ELj5ELj8ELN6hipcub21WarpExchangeAlgorithmE0E18StripedToBlockedOpcEvPT4_S4_: ; @_Z20warp_exchange_kernelILj1024ELj5ELj8ELN6hipcub21WarpExchangeAlgorithmE0E18StripedToBlockedOpcEvPT4_S4_
; %bb.0:
	s_load_dwordx4 s[0:3], s[4:5], 0x0
	v_mul_u32_u24_e32 v1, 5, v0
	v_mbcnt_lo_u32_b32 v4, -1, 0
	v_lshrrev_b32_e32 v0, 3, v0
	v_mbcnt_hi_u32_b32 v4, -1, v4
	s_waitcnt lgkmcnt(0)
	global_load_dword v2, v1, s[0:1]
	global_load_sbyte v3, v1, s[0:1] offset:4
	v_mul_u32_u24_e32 v5, 40, v0
	v_and_b32_e32 v4, 7, v4
	v_or_b32_e32 v5, v5, v4
	v_mul_u32_u24_e32 v4, 5, v4
	v_mad_u32_u24 v0, v0, 40, v4
	s_waitcnt vmcnt(1)
	v_lshrrev_b32_e32 v4, 8, v2
	v_lshrrev_b32_e32 v6, 24, v2
	ds_write_b8 v5, v2
	ds_write_b8_d16_hi v5, v2 offset:16
	s_waitcnt vmcnt(0)
	ds_write_b8 v5, v3 offset:32
	ds_write_b8 v5, v4 offset:8
	;; [unrolled: 1-line block ×3, first 2 shown]
	; wave barrier
	ds_read_u8 v2, v0 offset:4
	ds_read_b32 v0, v0
	s_waitcnt lgkmcnt(1)
	global_store_byte v1, v2, s[2:3] offset:4
	s_waitcnt lgkmcnt(0)
	global_store_dword v1, v0, s[2:3]
	s_endpgm
	.section	.rodata,"a",@progbits
	.p2align	6, 0x0
	.amdhsa_kernel _Z20warp_exchange_kernelILj1024ELj5ELj8ELN6hipcub21WarpExchangeAlgorithmE0E18StripedToBlockedOpcEvPT4_S4_
		.amdhsa_group_segment_fixed_size 5120
		.amdhsa_private_segment_fixed_size 0
		.amdhsa_kernarg_size 16
		.amdhsa_user_sgpr_count 6
		.amdhsa_user_sgpr_private_segment_buffer 1
		.amdhsa_user_sgpr_dispatch_ptr 0
		.amdhsa_user_sgpr_queue_ptr 0
		.amdhsa_user_sgpr_kernarg_segment_ptr 1
		.amdhsa_user_sgpr_dispatch_id 0
		.amdhsa_user_sgpr_flat_scratch_init 0
		.amdhsa_user_sgpr_kernarg_preload_length 0
		.amdhsa_user_sgpr_kernarg_preload_offset 0
		.amdhsa_user_sgpr_private_segment_size 0
		.amdhsa_uses_dynamic_stack 0
		.amdhsa_system_sgpr_private_segment_wavefront_offset 0
		.amdhsa_system_sgpr_workgroup_id_x 1
		.amdhsa_system_sgpr_workgroup_id_y 0
		.amdhsa_system_sgpr_workgroup_id_z 0
		.amdhsa_system_sgpr_workgroup_info 0
		.amdhsa_system_vgpr_workitem_id 0
		.amdhsa_next_free_vgpr 7
		.amdhsa_next_free_sgpr 6
		.amdhsa_accum_offset 8
		.amdhsa_reserve_vcc 0
		.amdhsa_reserve_flat_scratch 0
		.amdhsa_float_round_mode_32 0
		.amdhsa_float_round_mode_16_64 0
		.amdhsa_float_denorm_mode_32 3
		.amdhsa_float_denorm_mode_16_64 3
		.amdhsa_dx10_clamp 1
		.amdhsa_ieee_mode 1
		.amdhsa_fp16_overflow 0
		.amdhsa_tg_split 0
		.amdhsa_exception_fp_ieee_invalid_op 0
		.amdhsa_exception_fp_denorm_src 0
		.amdhsa_exception_fp_ieee_div_zero 0
		.amdhsa_exception_fp_ieee_overflow 0
		.amdhsa_exception_fp_ieee_underflow 0
		.amdhsa_exception_fp_ieee_inexact 0
		.amdhsa_exception_int_div_zero 0
	.end_amdhsa_kernel
	.section	.text._Z20warp_exchange_kernelILj1024ELj5ELj8ELN6hipcub21WarpExchangeAlgorithmE0E18StripedToBlockedOpcEvPT4_S4_,"axG",@progbits,_Z20warp_exchange_kernelILj1024ELj5ELj8ELN6hipcub21WarpExchangeAlgorithmE0E18StripedToBlockedOpcEvPT4_S4_,comdat
.Lfunc_end45:
	.size	_Z20warp_exchange_kernelILj1024ELj5ELj8ELN6hipcub21WarpExchangeAlgorithmE0E18StripedToBlockedOpcEvPT4_S4_, .Lfunc_end45-_Z20warp_exchange_kernelILj1024ELj5ELj8ELN6hipcub21WarpExchangeAlgorithmE0E18StripedToBlockedOpcEvPT4_S4_
                                        ; -- End function
	.section	.AMDGPU.csdata,"",@progbits
; Kernel info:
; codeLenInByte = 176
; NumSgprs: 10
; NumVgprs: 7
; NumAgprs: 0
; TotalNumVgprs: 7
; ScratchSize: 0
; MemoryBound: 0
; FloatMode: 240
; IeeeMode: 1
; LDSByteSize: 5120 bytes/workgroup (compile time only)
; SGPRBlocks: 1
; VGPRBlocks: 0
; NumSGPRsForWavesPerEU: 10
; NumVGPRsForWavesPerEU: 7
; AccumOffset: 8
; Occupancy: 8
; WaveLimiterHint : 0
; COMPUTE_PGM_RSRC2:SCRATCH_EN: 0
; COMPUTE_PGM_RSRC2:USER_SGPR: 6
; COMPUTE_PGM_RSRC2:TRAP_HANDLER: 0
; COMPUTE_PGM_RSRC2:TGID_X_EN: 1
; COMPUTE_PGM_RSRC2:TGID_Y_EN: 0
; COMPUTE_PGM_RSRC2:TGID_Z_EN: 0
; COMPUTE_PGM_RSRC2:TIDIG_COMP_CNT: 0
; COMPUTE_PGM_RSRC3_GFX90A:ACCUM_OFFSET: 1
; COMPUTE_PGM_RSRC3_GFX90A:TG_SPLIT: 0
	.section	.text._Z20warp_exchange_kernelILj1024ELj4ELj8ELN6hipcub21WarpExchangeAlgorithmE0E18StripedToBlockedOpcEvPT4_S4_,"axG",@progbits,_Z20warp_exchange_kernelILj1024ELj4ELj8ELN6hipcub21WarpExchangeAlgorithmE0E18StripedToBlockedOpcEvPT4_S4_,comdat
	.protected	_Z20warp_exchange_kernelILj1024ELj4ELj8ELN6hipcub21WarpExchangeAlgorithmE0E18StripedToBlockedOpcEvPT4_S4_ ; -- Begin function _Z20warp_exchange_kernelILj1024ELj4ELj8ELN6hipcub21WarpExchangeAlgorithmE0E18StripedToBlockedOpcEvPT4_S4_
	.globl	_Z20warp_exchange_kernelILj1024ELj4ELj8ELN6hipcub21WarpExchangeAlgorithmE0E18StripedToBlockedOpcEvPT4_S4_
	.p2align	8
	.type	_Z20warp_exchange_kernelILj1024ELj4ELj8ELN6hipcub21WarpExchangeAlgorithmE0E18StripedToBlockedOpcEvPT4_S4_,@function
_Z20warp_exchange_kernelILj1024ELj4ELj8ELN6hipcub21WarpExchangeAlgorithmE0E18StripedToBlockedOpcEvPT4_S4_: ; @_Z20warp_exchange_kernelILj1024ELj4ELj8ELN6hipcub21WarpExchangeAlgorithmE0E18StripedToBlockedOpcEvPT4_S4_
; %bb.0:
	s_load_dwordx4 s[0:3], s[4:5], 0x0
	v_lshlrev_b32_e32 v0, 2, v0
	v_mbcnt_lo_u32_b32 v2, -1, 0
	v_mbcnt_hi_u32_b32 v2, -1, v2
	v_and_b32_e32 v3, 0xfe0, v0
	s_waitcnt lgkmcnt(0)
	global_load_dword v1, v0, s[0:1]
	v_and_b32_e32 v2, 7, v2
	v_or_b32_e32 v4, v3, v2
	v_lshl_or_b32 v2, v2, 2, v3
	s_waitcnt vmcnt(0)
	v_lshrrev_b32_e32 v3, 8, v1
	v_lshrrev_b32_e32 v5, 24, v1
	ds_write_b8 v4, v1
	ds_write_b8_d16_hi v4, v1 offset:16
	ds_write_b8 v4, v3 offset:8
	ds_write_b8 v4, v5 offset:24
	; wave barrier
	ds_read_b32 v1, v2
	s_waitcnt lgkmcnt(0)
	global_store_dword v0, v1, s[2:3]
	s_endpgm
	.section	.rodata,"a",@progbits
	.p2align	6, 0x0
	.amdhsa_kernel _Z20warp_exchange_kernelILj1024ELj4ELj8ELN6hipcub21WarpExchangeAlgorithmE0E18StripedToBlockedOpcEvPT4_S4_
		.amdhsa_group_segment_fixed_size 4096
		.amdhsa_private_segment_fixed_size 0
		.amdhsa_kernarg_size 16
		.amdhsa_user_sgpr_count 6
		.amdhsa_user_sgpr_private_segment_buffer 1
		.amdhsa_user_sgpr_dispatch_ptr 0
		.amdhsa_user_sgpr_queue_ptr 0
		.amdhsa_user_sgpr_kernarg_segment_ptr 1
		.amdhsa_user_sgpr_dispatch_id 0
		.amdhsa_user_sgpr_flat_scratch_init 0
		.amdhsa_user_sgpr_kernarg_preload_length 0
		.amdhsa_user_sgpr_kernarg_preload_offset 0
		.amdhsa_user_sgpr_private_segment_size 0
		.amdhsa_uses_dynamic_stack 0
		.amdhsa_system_sgpr_private_segment_wavefront_offset 0
		.amdhsa_system_sgpr_workgroup_id_x 1
		.amdhsa_system_sgpr_workgroup_id_y 0
		.amdhsa_system_sgpr_workgroup_id_z 0
		.amdhsa_system_sgpr_workgroup_info 0
		.amdhsa_system_vgpr_workitem_id 0
		.amdhsa_next_free_vgpr 6
		.amdhsa_next_free_sgpr 6
		.amdhsa_accum_offset 8
		.amdhsa_reserve_vcc 0
		.amdhsa_reserve_flat_scratch 0
		.amdhsa_float_round_mode_32 0
		.amdhsa_float_round_mode_16_64 0
		.amdhsa_float_denorm_mode_32 3
		.amdhsa_float_denorm_mode_16_64 3
		.amdhsa_dx10_clamp 1
		.amdhsa_ieee_mode 1
		.amdhsa_fp16_overflow 0
		.amdhsa_tg_split 0
		.amdhsa_exception_fp_ieee_invalid_op 0
		.amdhsa_exception_fp_denorm_src 0
		.amdhsa_exception_fp_ieee_div_zero 0
		.amdhsa_exception_fp_ieee_overflow 0
		.amdhsa_exception_fp_ieee_underflow 0
		.amdhsa_exception_fp_ieee_inexact 0
		.amdhsa_exception_int_div_zero 0
	.end_amdhsa_kernel
	.section	.text._Z20warp_exchange_kernelILj1024ELj4ELj8ELN6hipcub21WarpExchangeAlgorithmE0E18StripedToBlockedOpcEvPT4_S4_,"axG",@progbits,_Z20warp_exchange_kernelILj1024ELj4ELj8ELN6hipcub21WarpExchangeAlgorithmE0E18StripedToBlockedOpcEvPT4_S4_,comdat
.Lfunc_end46:
	.size	_Z20warp_exchange_kernelILj1024ELj4ELj8ELN6hipcub21WarpExchangeAlgorithmE0E18StripedToBlockedOpcEvPT4_S4_, .Lfunc_end46-_Z20warp_exchange_kernelILj1024ELj4ELj8ELN6hipcub21WarpExchangeAlgorithmE0E18StripedToBlockedOpcEvPT4_S4_
                                        ; -- End function
	.section	.AMDGPU.csdata,"",@progbits
; Kernel info:
; codeLenInByte = 132
; NumSgprs: 10
; NumVgprs: 6
; NumAgprs: 0
; TotalNumVgprs: 6
; ScratchSize: 0
; MemoryBound: 0
; FloatMode: 240
; IeeeMode: 1
; LDSByteSize: 4096 bytes/workgroup (compile time only)
; SGPRBlocks: 1
; VGPRBlocks: 0
; NumSGPRsForWavesPerEU: 10
; NumVGPRsForWavesPerEU: 6
; AccumOffset: 8
; Occupancy: 8
; WaveLimiterHint : 0
; COMPUTE_PGM_RSRC2:SCRATCH_EN: 0
; COMPUTE_PGM_RSRC2:USER_SGPR: 6
; COMPUTE_PGM_RSRC2:TRAP_HANDLER: 0
; COMPUTE_PGM_RSRC2:TGID_X_EN: 1
; COMPUTE_PGM_RSRC2:TGID_Y_EN: 0
; COMPUTE_PGM_RSRC2:TGID_Z_EN: 0
; COMPUTE_PGM_RSRC2:TIDIG_COMP_CNT: 0
; COMPUTE_PGM_RSRC3_GFX90A:ACCUM_OFFSET: 1
; COMPUTE_PGM_RSRC3_GFX90A:TG_SPLIT: 0
	.section	.text._Z20warp_exchange_kernelILj1024ELj1ELj8ELN6hipcub21WarpExchangeAlgorithmE0E18StripedToBlockedOpcEvPT4_S4_,"axG",@progbits,_Z20warp_exchange_kernelILj1024ELj1ELj8ELN6hipcub21WarpExchangeAlgorithmE0E18StripedToBlockedOpcEvPT4_S4_,comdat
	.protected	_Z20warp_exchange_kernelILj1024ELj1ELj8ELN6hipcub21WarpExchangeAlgorithmE0E18StripedToBlockedOpcEvPT4_S4_ ; -- Begin function _Z20warp_exchange_kernelILj1024ELj1ELj8ELN6hipcub21WarpExchangeAlgorithmE0E18StripedToBlockedOpcEvPT4_S4_
	.globl	_Z20warp_exchange_kernelILj1024ELj1ELj8ELN6hipcub21WarpExchangeAlgorithmE0E18StripedToBlockedOpcEvPT4_S4_
	.p2align	8
	.type	_Z20warp_exchange_kernelILj1024ELj1ELj8ELN6hipcub21WarpExchangeAlgorithmE0E18StripedToBlockedOpcEvPT4_S4_,@function
_Z20warp_exchange_kernelILj1024ELj1ELj8ELN6hipcub21WarpExchangeAlgorithmE0E18StripedToBlockedOpcEvPT4_S4_: ; @_Z20warp_exchange_kernelILj1024ELj1ELj8ELN6hipcub21WarpExchangeAlgorithmE0E18StripedToBlockedOpcEvPT4_S4_
; %bb.0:
	s_load_dwordx4 s[0:3], s[4:5], 0x0
	v_mbcnt_lo_u32_b32 v2, -1, 0
	v_mbcnt_hi_u32_b32 v2, -1, v2
	v_and_b32_e32 v2, 7, v2
	s_waitcnt lgkmcnt(0)
	global_load_ubyte v1, v0, s[0:1]
	s_movk_i32 s0, 0x3f8
	v_and_or_b32 v2, v0, s0, v2
	s_waitcnt vmcnt(0)
	ds_write_b8 v2, v1
	; wave barrier
	ds_read_u8 v1, v2
	s_waitcnt lgkmcnt(0)
	global_store_byte v0, v1, s[2:3]
	s_endpgm
	.section	.rodata,"a",@progbits
	.p2align	6, 0x0
	.amdhsa_kernel _Z20warp_exchange_kernelILj1024ELj1ELj8ELN6hipcub21WarpExchangeAlgorithmE0E18StripedToBlockedOpcEvPT4_S4_
		.amdhsa_group_segment_fixed_size 1024
		.amdhsa_private_segment_fixed_size 0
		.amdhsa_kernarg_size 16
		.amdhsa_user_sgpr_count 6
		.amdhsa_user_sgpr_private_segment_buffer 1
		.amdhsa_user_sgpr_dispatch_ptr 0
		.amdhsa_user_sgpr_queue_ptr 0
		.amdhsa_user_sgpr_kernarg_segment_ptr 1
		.amdhsa_user_sgpr_dispatch_id 0
		.amdhsa_user_sgpr_flat_scratch_init 0
		.amdhsa_user_sgpr_kernarg_preload_length 0
		.amdhsa_user_sgpr_kernarg_preload_offset 0
		.amdhsa_user_sgpr_private_segment_size 0
		.amdhsa_uses_dynamic_stack 0
		.amdhsa_system_sgpr_private_segment_wavefront_offset 0
		.amdhsa_system_sgpr_workgroup_id_x 1
		.amdhsa_system_sgpr_workgroup_id_y 0
		.amdhsa_system_sgpr_workgroup_id_z 0
		.amdhsa_system_sgpr_workgroup_info 0
		.amdhsa_system_vgpr_workitem_id 0
		.amdhsa_next_free_vgpr 3
		.amdhsa_next_free_sgpr 6
		.amdhsa_accum_offset 4
		.amdhsa_reserve_vcc 0
		.amdhsa_reserve_flat_scratch 0
		.amdhsa_float_round_mode_32 0
		.amdhsa_float_round_mode_16_64 0
		.amdhsa_float_denorm_mode_32 3
		.amdhsa_float_denorm_mode_16_64 3
		.amdhsa_dx10_clamp 1
		.amdhsa_ieee_mode 1
		.amdhsa_fp16_overflow 0
		.amdhsa_tg_split 0
		.amdhsa_exception_fp_ieee_invalid_op 0
		.amdhsa_exception_fp_denorm_src 0
		.amdhsa_exception_fp_ieee_div_zero 0
		.amdhsa_exception_fp_ieee_overflow 0
		.amdhsa_exception_fp_ieee_underflow 0
		.amdhsa_exception_fp_ieee_inexact 0
		.amdhsa_exception_int_div_zero 0
	.end_amdhsa_kernel
	.section	.text._Z20warp_exchange_kernelILj1024ELj1ELj8ELN6hipcub21WarpExchangeAlgorithmE0E18StripedToBlockedOpcEvPT4_S4_,"axG",@progbits,_Z20warp_exchange_kernelILj1024ELj1ELj8ELN6hipcub21WarpExchangeAlgorithmE0E18StripedToBlockedOpcEvPT4_S4_,comdat
.Lfunc_end47:
	.size	_Z20warp_exchange_kernelILj1024ELj1ELj8ELN6hipcub21WarpExchangeAlgorithmE0E18StripedToBlockedOpcEvPT4_S4_, .Lfunc_end47-_Z20warp_exchange_kernelILj1024ELj1ELj8ELN6hipcub21WarpExchangeAlgorithmE0E18StripedToBlockedOpcEvPT4_S4_
                                        ; -- End function
	.section	.AMDGPU.csdata,"",@progbits
; Kernel info:
; codeLenInByte = 88
; NumSgprs: 10
; NumVgprs: 3
; NumAgprs: 0
; TotalNumVgprs: 3
; ScratchSize: 0
; MemoryBound: 0
; FloatMode: 240
; IeeeMode: 1
; LDSByteSize: 1024 bytes/workgroup (compile time only)
; SGPRBlocks: 1
; VGPRBlocks: 0
; NumSGPRsForWavesPerEU: 10
; NumVGPRsForWavesPerEU: 3
; AccumOffset: 4
; Occupancy: 8
; WaveLimiterHint : 0
; COMPUTE_PGM_RSRC2:SCRATCH_EN: 0
; COMPUTE_PGM_RSRC2:USER_SGPR: 6
; COMPUTE_PGM_RSRC2:TRAP_HANDLER: 0
; COMPUTE_PGM_RSRC2:TGID_X_EN: 1
; COMPUTE_PGM_RSRC2:TGID_Y_EN: 0
; COMPUTE_PGM_RSRC2:TGID_Z_EN: 0
; COMPUTE_PGM_RSRC2:TIDIG_COMP_CNT: 0
; COMPUTE_PGM_RSRC3_GFX90A:ACCUM_OFFSET: 0
; COMPUTE_PGM_RSRC3_GFX90A:TG_SPLIT: 0
	.section	.text._Z20warp_exchange_kernelILj1024ELj4ELj64ELN6hipcub21WarpExchangeAlgorithmE1E18StripedToBlockedOp6__halfEvPT4_S5_,"axG",@progbits,_Z20warp_exchange_kernelILj1024ELj4ELj64ELN6hipcub21WarpExchangeAlgorithmE1E18StripedToBlockedOp6__halfEvPT4_S5_,comdat
	.protected	_Z20warp_exchange_kernelILj1024ELj4ELj64ELN6hipcub21WarpExchangeAlgorithmE1E18StripedToBlockedOp6__halfEvPT4_S5_ ; -- Begin function _Z20warp_exchange_kernelILj1024ELj4ELj64ELN6hipcub21WarpExchangeAlgorithmE1E18StripedToBlockedOp6__halfEvPT4_S5_
	.globl	_Z20warp_exchange_kernelILj1024ELj4ELj64ELN6hipcub21WarpExchangeAlgorithmE1E18StripedToBlockedOp6__halfEvPT4_S5_
	.p2align	8
	.type	_Z20warp_exchange_kernelILj1024ELj4ELj64ELN6hipcub21WarpExchangeAlgorithmE1E18StripedToBlockedOp6__halfEvPT4_S5_,@function
_Z20warp_exchange_kernelILj1024ELj4ELj64ELN6hipcub21WarpExchangeAlgorithmE1E18StripedToBlockedOp6__halfEvPT4_S5_: ; @_Z20warp_exchange_kernelILj1024ELj4ELj64ELN6hipcub21WarpExchangeAlgorithmE1E18StripedToBlockedOp6__halfEvPT4_S5_
; %bb.0:
	s_load_dwordx4 s[0:3], s[4:5], 0x0
	v_lshlrev_b32_e32 v2, 3, v0
	v_mbcnt_lo_u32_b32 v3, -1, 0
	v_mbcnt_hi_u32_b32 v3, -1, v3
	v_lshlrev_b32_e32 v4, 2, v3
	s_waitcnt lgkmcnt(0)
	global_load_dwordx2 v[0:1], v2, s[0:1]
	v_and_b32_e32 v5, 64, v3
	v_and_or_b32 v4, v4, 60, v5
	v_lshlrev_b32_e32 v4, 2, v4
	v_lshrrev_b32_e32 v3, 4, v3
	v_cmp_eq_u32_e32 vcc, 1, v3
	s_mov_b32 s0, 0x5040100
	s_waitcnt vmcnt(0)
	v_lshrrev_b32_e32 v5, 16, v0
	v_and_b32_e32 v0, 0xffff, v0
	v_lshrrev_b32_e32 v6, 16, v1
	v_and_b32_e32 v1, 0xffff, v1
	ds_bpermute_b32 v7, v4, v0
	ds_bpermute_b32 v8, v4, v5
	ds_bpermute_b32 v11, v4, v0 offset:4
	ds_bpermute_b32 v12, v4, v5 offset:4
	;; [unrolled: 1-line block ×6, first 2 shown]
	ds_bpermute_b32 v9, v4, v1
	ds_bpermute_b32 v13, v4, v1 offset:4
	ds_bpermute_b32 v17, v4, v1 offset:8
	;; [unrolled: 1-line block ×3, first 2 shown]
	ds_bpermute_b32 v10, v4, v6
	ds_bpermute_b32 v14, v4, v6 offset:4
	ds_bpermute_b32 v18, v4, v6 offset:8
	;; [unrolled: 1-line block ×3, first 2 shown]
	s_waitcnt lgkmcnt(14)
	v_cndmask_b32_e32 v6, v7, v8, vcc
	s_waitcnt lgkmcnt(12)
	v_cndmask_b32_e32 v7, v11, v12, vcc
	s_waitcnt lgkmcnt(10)
	v_cndmask_b32_e32 v8, v15, v16, vcc
	s_waitcnt lgkmcnt(8)
	v_cndmask_b32_e32 v0, v0, v5, vcc
	v_cmp_eq_u32_e32 vcc, 2, v3
	s_waitcnt lgkmcnt(7)
	v_cndmask_b32_e32 v5, v6, v9, vcc
	s_waitcnt lgkmcnt(6)
	v_cndmask_b32_e32 v6, v7, v13, vcc
	;; [unrolled: 2-line block ×4, first 2 shown]
	v_cmp_eq_u32_e32 vcc, 3, v3
	s_waitcnt lgkmcnt(3)
	v_cndmask_b32_e32 v3, v5, v10, vcc
	s_waitcnt lgkmcnt(2)
	v_cndmask_b32_e32 v5, v6, v14, vcc
	;; [unrolled: 2-line block ×4, first 2 shown]
	v_perm_b32 v1, v0, v1, s0
	v_perm_b32 v0, v5, v3, s0
	global_store_dwordx2 v2, v[0:1], s[2:3]
	s_endpgm
	.section	.rodata,"a",@progbits
	.p2align	6, 0x0
	.amdhsa_kernel _Z20warp_exchange_kernelILj1024ELj4ELj64ELN6hipcub21WarpExchangeAlgorithmE1E18StripedToBlockedOp6__halfEvPT4_S5_
		.amdhsa_group_segment_fixed_size 0
		.amdhsa_private_segment_fixed_size 0
		.amdhsa_kernarg_size 16
		.amdhsa_user_sgpr_count 6
		.amdhsa_user_sgpr_private_segment_buffer 1
		.amdhsa_user_sgpr_dispatch_ptr 0
		.amdhsa_user_sgpr_queue_ptr 0
		.amdhsa_user_sgpr_kernarg_segment_ptr 1
		.amdhsa_user_sgpr_dispatch_id 0
		.amdhsa_user_sgpr_flat_scratch_init 0
		.amdhsa_user_sgpr_kernarg_preload_length 0
		.amdhsa_user_sgpr_kernarg_preload_offset 0
		.amdhsa_user_sgpr_private_segment_size 0
		.amdhsa_uses_dynamic_stack 0
		.amdhsa_system_sgpr_private_segment_wavefront_offset 0
		.amdhsa_system_sgpr_workgroup_id_x 1
		.amdhsa_system_sgpr_workgroup_id_y 0
		.amdhsa_system_sgpr_workgroup_id_z 0
		.amdhsa_system_sgpr_workgroup_info 0
		.amdhsa_system_vgpr_workitem_id 0
		.amdhsa_next_free_vgpr 19
		.amdhsa_next_free_sgpr 6
		.amdhsa_accum_offset 20
		.amdhsa_reserve_vcc 1
		.amdhsa_reserve_flat_scratch 0
		.amdhsa_float_round_mode_32 0
		.amdhsa_float_round_mode_16_64 0
		.amdhsa_float_denorm_mode_32 3
		.amdhsa_float_denorm_mode_16_64 3
		.amdhsa_dx10_clamp 1
		.amdhsa_ieee_mode 1
		.amdhsa_fp16_overflow 0
		.amdhsa_tg_split 0
		.amdhsa_exception_fp_ieee_invalid_op 0
		.amdhsa_exception_fp_denorm_src 0
		.amdhsa_exception_fp_ieee_div_zero 0
		.amdhsa_exception_fp_ieee_overflow 0
		.amdhsa_exception_fp_ieee_underflow 0
		.amdhsa_exception_fp_ieee_inexact 0
		.amdhsa_exception_int_div_zero 0
	.end_amdhsa_kernel
	.section	.text._Z20warp_exchange_kernelILj1024ELj4ELj64ELN6hipcub21WarpExchangeAlgorithmE1E18StripedToBlockedOp6__halfEvPT4_S5_,"axG",@progbits,_Z20warp_exchange_kernelILj1024ELj4ELj64ELN6hipcub21WarpExchangeAlgorithmE1E18StripedToBlockedOp6__halfEvPT4_S5_,comdat
.Lfunc_end48:
	.size	_Z20warp_exchange_kernelILj1024ELj4ELj64ELN6hipcub21WarpExchangeAlgorithmE1E18StripedToBlockedOp6__halfEvPT4_S5_, .Lfunc_end48-_Z20warp_exchange_kernelILj1024ELj4ELj64ELN6hipcub21WarpExchangeAlgorithmE1E18StripedToBlockedOp6__halfEvPT4_S5_
                                        ; -- End function
	.section	.AMDGPU.csdata,"",@progbits
; Kernel info:
; codeLenInByte = 364
; NumSgprs: 10
; NumVgprs: 19
; NumAgprs: 0
; TotalNumVgprs: 19
; ScratchSize: 0
; MemoryBound: 0
; FloatMode: 240
; IeeeMode: 1
; LDSByteSize: 0 bytes/workgroup (compile time only)
; SGPRBlocks: 1
; VGPRBlocks: 2
; NumSGPRsForWavesPerEU: 10
; NumVGPRsForWavesPerEU: 19
; AccumOffset: 20
; Occupancy: 8
; WaveLimiterHint : 0
; COMPUTE_PGM_RSRC2:SCRATCH_EN: 0
; COMPUTE_PGM_RSRC2:USER_SGPR: 6
; COMPUTE_PGM_RSRC2:TRAP_HANDLER: 0
; COMPUTE_PGM_RSRC2:TGID_X_EN: 1
; COMPUTE_PGM_RSRC2:TGID_Y_EN: 0
; COMPUTE_PGM_RSRC2:TGID_Z_EN: 0
; COMPUTE_PGM_RSRC2:TIDIG_COMP_CNT: 0
; COMPUTE_PGM_RSRC3_GFX90A:ACCUM_OFFSET: 4
; COMPUTE_PGM_RSRC3_GFX90A:TG_SPLIT: 0
	.section	.text._Z20warp_exchange_kernelILj1024ELj1ELj64ELN6hipcub21WarpExchangeAlgorithmE1E18StripedToBlockedOp6__halfEvPT4_S5_,"axG",@progbits,_Z20warp_exchange_kernelILj1024ELj1ELj64ELN6hipcub21WarpExchangeAlgorithmE1E18StripedToBlockedOp6__halfEvPT4_S5_,comdat
	.protected	_Z20warp_exchange_kernelILj1024ELj1ELj64ELN6hipcub21WarpExchangeAlgorithmE1E18StripedToBlockedOp6__halfEvPT4_S5_ ; -- Begin function _Z20warp_exchange_kernelILj1024ELj1ELj64ELN6hipcub21WarpExchangeAlgorithmE1E18StripedToBlockedOp6__halfEvPT4_S5_
	.globl	_Z20warp_exchange_kernelILj1024ELj1ELj64ELN6hipcub21WarpExchangeAlgorithmE1E18StripedToBlockedOp6__halfEvPT4_S5_
	.p2align	8
	.type	_Z20warp_exchange_kernelILj1024ELj1ELj64ELN6hipcub21WarpExchangeAlgorithmE1E18StripedToBlockedOp6__halfEvPT4_S5_,@function
_Z20warp_exchange_kernelILj1024ELj1ELj64ELN6hipcub21WarpExchangeAlgorithmE1E18StripedToBlockedOp6__halfEvPT4_S5_: ; @_Z20warp_exchange_kernelILj1024ELj1ELj64ELN6hipcub21WarpExchangeAlgorithmE1E18StripedToBlockedOp6__halfEvPT4_S5_
; %bb.0:
	s_load_dwordx4 s[0:3], s[4:5], 0x0
	v_lshlrev_b32_e32 v0, 1, v0
	v_mbcnt_lo_u32_b32 v2, -1, 0
	v_mbcnt_hi_u32_b32 v2, -1, v2
	v_lshlrev_b32_e32 v2, 2, v2
	s_waitcnt lgkmcnt(0)
	global_load_ushort v1, v0, s[0:1]
	s_waitcnt vmcnt(0)
	ds_bpermute_b32 v1, v2, v1
	s_waitcnt lgkmcnt(0)
	global_store_short v0, v1, s[2:3]
	s_endpgm
	.section	.rodata,"a",@progbits
	.p2align	6, 0x0
	.amdhsa_kernel _Z20warp_exchange_kernelILj1024ELj1ELj64ELN6hipcub21WarpExchangeAlgorithmE1E18StripedToBlockedOp6__halfEvPT4_S5_
		.amdhsa_group_segment_fixed_size 0
		.amdhsa_private_segment_fixed_size 0
		.amdhsa_kernarg_size 16
		.amdhsa_user_sgpr_count 6
		.amdhsa_user_sgpr_private_segment_buffer 1
		.amdhsa_user_sgpr_dispatch_ptr 0
		.amdhsa_user_sgpr_queue_ptr 0
		.amdhsa_user_sgpr_kernarg_segment_ptr 1
		.amdhsa_user_sgpr_dispatch_id 0
		.amdhsa_user_sgpr_flat_scratch_init 0
		.amdhsa_user_sgpr_kernarg_preload_length 0
		.amdhsa_user_sgpr_kernarg_preload_offset 0
		.amdhsa_user_sgpr_private_segment_size 0
		.amdhsa_uses_dynamic_stack 0
		.amdhsa_system_sgpr_private_segment_wavefront_offset 0
		.amdhsa_system_sgpr_workgroup_id_x 1
		.amdhsa_system_sgpr_workgroup_id_y 0
		.amdhsa_system_sgpr_workgroup_id_z 0
		.amdhsa_system_sgpr_workgroup_info 0
		.amdhsa_system_vgpr_workitem_id 0
		.amdhsa_next_free_vgpr 3
		.amdhsa_next_free_sgpr 6
		.amdhsa_accum_offset 4
		.amdhsa_reserve_vcc 0
		.amdhsa_reserve_flat_scratch 0
		.amdhsa_float_round_mode_32 0
		.amdhsa_float_round_mode_16_64 0
		.amdhsa_float_denorm_mode_32 3
		.amdhsa_float_denorm_mode_16_64 3
		.amdhsa_dx10_clamp 1
		.amdhsa_ieee_mode 1
		.amdhsa_fp16_overflow 0
		.amdhsa_tg_split 0
		.amdhsa_exception_fp_ieee_invalid_op 0
		.amdhsa_exception_fp_denorm_src 0
		.amdhsa_exception_fp_ieee_div_zero 0
		.amdhsa_exception_fp_ieee_overflow 0
		.amdhsa_exception_fp_ieee_underflow 0
		.amdhsa_exception_fp_ieee_inexact 0
		.amdhsa_exception_int_div_zero 0
	.end_amdhsa_kernel
	.section	.text._Z20warp_exchange_kernelILj1024ELj1ELj64ELN6hipcub21WarpExchangeAlgorithmE1E18StripedToBlockedOp6__halfEvPT4_S5_,"axG",@progbits,_Z20warp_exchange_kernelILj1024ELj1ELj64ELN6hipcub21WarpExchangeAlgorithmE1E18StripedToBlockedOp6__halfEvPT4_S5_,comdat
.Lfunc_end49:
	.size	_Z20warp_exchange_kernelILj1024ELj1ELj64ELN6hipcub21WarpExchangeAlgorithmE1E18StripedToBlockedOp6__halfEvPT4_S5_, .Lfunc_end49-_Z20warp_exchange_kernelILj1024ELj1ELj64ELN6hipcub21WarpExchangeAlgorithmE1E18StripedToBlockedOp6__halfEvPT4_S5_
                                        ; -- End function
	.section	.AMDGPU.csdata,"",@progbits
; Kernel info:
; codeLenInByte = 72
; NumSgprs: 10
; NumVgprs: 3
; NumAgprs: 0
; TotalNumVgprs: 3
; ScratchSize: 0
; MemoryBound: 0
; FloatMode: 240
; IeeeMode: 1
; LDSByteSize: 0 bytes/workgroup (compile time only)
; SGPRBlocks: 1
; VGPRBlocks: 0
; NumSGPRsForWavesPerEU: 10
; NumVGPRsForWavesPerEU: 3
; AccumOffset: 4
; Occupancy: 8
; WaveLimiterHint : 0
; COMPUTE_PGM_RSRC2:SCRATCH_EN: 0
; COMPUTE_PGM_RSRC2:USER_SGPR: 6
; COMPUTE_PGM_RSRC2:TRAP_HANDLER: 0
; COMPUTE_PGM_RSRC2:TGID_X_EN: 1
; COMPUTE_PGM_RSRC2:TGID_Y_EN: 0
; COMPUTE_PGM_RSRC2:TGID_Z_EN: 0
; COMPUTE_PGM_RSRC2:TIDIG_COMP_CNT: 0
; COMPUTE_PGM_RSRC3_GFX90A:ACCUM_OFFSET: 0
; COMPUTE_PGM_RSRC3_GFX90A:TG_SPLIT: 0
	.section	.text._Z20warp_exchange_kernelILj1024ELj4ELj32ELN6hipcub21WarpExchangeAlgorithmE1E18StripedToBlockedOp6__halfEvPT4_S5_,"axG",@progbits,_Z20warp_exchange_kernelILj1024ELj4ELj32ELN6hipcub21WarpExchangeAlgorithmE1E18StripedToBlockedOp6__halfEvPT4_S5_,comdat
	.protected	_Z20warp_exchange_kernelILj1024ELj4ELj32ELN6hipcub21WarpExchangeAlgorithmE1E18StripedToBlockedOp6__halfEvPT4_S5_ ; -- Begin function _Z20warp_exchange_kernelILj1024ELj4ELj32ELN6hipcub21WarpExchangeAlgorithmE1E18StripedToBlockedOp6__halfEvPT4_S5_
	.globl	_Z20warp_exchange_kernelILj1024ELj4ELj32ELN6hipcub21WarpExchangeAlgorithmE1E18StripedToBlockedOp6__halfEvPT4_S5_
	.p2align	8
	.type	_Z20warp_exchange_kernelILj1024ELj4ELj32ELN6hipcub21WarpExchangeAlgorithmE1E18StripedToBlockedOp6__halfEvPT4_S5_,@function
_Z20warp_exchange_kernelILj1024ELj4ELj32ELN6hipcub21WarpExchangeAlgorithmE1E18StripedToBlockedOp6__halfEvPT4_S5_: ; @_Z20warp_exchange_kernelILj1024ELj4ELj32ELN6hipcub21WarpExchangeAlgorithmE1E18StripedToBlockedOp6__halfEvPT4_S5_
; %bb.0:
	s_load_dwordx4 s[0:3], s[4:5], 0x0
	v_lshlrev_b32_e32 v2, 3, v0
	v_mbcnt_lo_u32_b32 v3, -1, 0
	v_mbcnt_hi_u32_b32 v3, -1, v3
	v_lshlrev_b32_e32 v4, 2, v3
	s_waitcnt lgkmcnt(0)
	global_load_dwordx2 v[0:1], v2, s[0:1]
	v_and_b32_e32 v5, 0x60, v3
	v_and_or_b32 v4, v4, 28, v5
	v_lshlrev_b32_e32 v4, 2, v4
	v_bfe_u32 v3, v3, 3, 2
	v_cmp_eq_u32_e32 vcc, 1, v3
	s_mov_b32 s0, 0x5040100
	s_waitcnt vmcnt(0)
	v_lshrrev_b32_e32 v5, 16, v0
	v_and_b32_e32 v0, 0xffff, v0
	v_lshrrev_b32_e32 v6, 16, v1
	v_and_b32_e32 v1, 0xffff, v1
	ds_bpermute_b32 v7, v4, v0
	ds_bpermute_b32 v8, v4, v5
	ds_bpermute_b32 v11, v4, v0 offset:4
	ds_bpermute_b32 v12, v4, v5 offset:4
	;; [unrolled: 1-line block ×6, first 2 shown]
	ds_bpermute_b32 v9, v4, v1
	ds_bpermute_b32 v13, v4, v1 offset:4
	ds_bpermute_b32 v17, v4, v1 offset:8
	;; [unrolled: 1-line block ×3, first 2 shown]
	ds_bpermute_b32 v10, v4, v6
	ds_bpermute_b32 v14, v4, v6 offset:4
	ds_bpermute_b32 v18, v4, v6 offset:8
	;; [unrolled: 1-line block ×3, first 2 shown]
	s_waitcnt lgkmcnt(14)
	v_cndmask_b32_e32 v6, v7, v8, vcc
	s_waitcnt lgkmcnt(12)
	v_cndmask_b32_e32 v7, v11, v12, vcc
	;; [unrolled: 2-line block ×4, first 2 shown]
	v_cmp_eq_u32_e32 vcc, 2, v3
	s_waitcnt lgkmcnt(7)
	v_cndmask_b32_e32 v5, v6, v9, vcc
	s_waitcnt lgkmcnt(6)
	v_cndmask_b32_e32 v6, v7, v13, vcc
	;; [unrolled: 2-line block ×4, first 2 shown]
	v_cmp_eq_u32_e32 vcc, 3, v3
	s_waitcnt lgkmcnt(3)
	v_cndmask_b32_e32 v3, v5, v10, vcc
	s_waitcnt lgkmcnt(2)
	v_cndmask_b32_e32 v5, v6, v14, vcc
	;; [unrolled: 2-line block ×4, first 2 shown]
	v_perm_b32 v1, v0, v1, s0
	v_perm_b32 v0, v5, v3, s0
	global_store_dwordx2 v2, v[0:1], s[2:3]
	s_endpgm
	.section	.rodata,"a",@progbits
	.p2align	6, 0x0
	.amdhsa_kernel _Z20warp_exchange_kernelILj1024ELj4ELj32ELN6hipcub21WarpExchangeAlgorithmE1E18StripedToBlockedOp6__halfEvPT4_S5_
		.amdhsa_group_segment_fixed_size 0
		.amdhsa_private_segment_fixed_size 0
		.amdhsa_kernarg_size 16
		.amdhsa_user_sgpr_count 6
		.amdhsa_user_sgpr_private_segment_buffer 1
		.amdhsa_user_sgpr_dispatch_ptr 0
		.amdhsa_user_sgpr_queue_ptr 0
		.amdhsa_user_sgpr_kernarg_segment_ptr 1
		.amdhsa_user_sgpr_dispatch_id 0
		.amdhsa_user_sgpr_flat_scratch_init 0
		.amdhsa_user_sgpr_kernarg_preload_length 0
		.amdhsa_user_sgpr_kernarg_preload_offset 0
		.amdhsa_user_sgpr_private_segment_size 0
		.amdhsa_uses_dynamic_stack 0
		.amdhsa_system_sgpr_private_segment_wavefront_offset 0
		.amdhsa_system_sgpr_workgroup_id_x 1
		.amdhsa_system_sgpr_workgroup_id_y 0
		.amdhsa_system_sgpr_workgroup_id_z 0
		.amdhsa_system_sgpr_workgroup_info 0
		.amdhsa_system_vgpr_workitem_id 0
		.amdhsa_next_free_vgpr 19
		.amdhsa_next_free_sgpr 6
		.amdhsa_accum_offset 20
		.amdhsa_reserve_vcc 1
		.amdhsa_reserve_flat_scratch 0
		.amdhsa_float_round_mode_32 0
		.amdhsa_float_round_mode_16_64 0
		.amdhsa_float_denorm_mode_32 3
		.amdhsa_float_denorm_mode_16_64 3
		.amdhsa_dx10_clamp 1
		.amdhsa_ieee_mode 1
		.amdhsa_fp16_overflow 0
		.amdhsa_tg_split 0
		.amdhsa_exception_fp_ieee_invalid_op 0
		.amdhsa_exception_fp_denorm_src 0
		.amdhsa_exception_fp_ieee_div_zero 0
		.amdhsa_exception_fp_ieee_overflow 0
		.amdhsa_exception_fp_ieee_underflow 0
		.amdhsa_exception_fp_ieee_inexact 0
		.amdhsa_exception_int_div_zero 0
	.end_amdhsa_kernel
	.section	.text._Z20warp_exchange_kernelILj1024ELj4ELj32ELN6hipcub21WarpExchangeAlgorithmE1E18StripedToBlockedOp6__halfEvPT4_S5_,"axG",@progbits,_Z20warp_exchange_kernelILj1024ELj4ELj32ELN6hipcub21WarpExchangeAlgorithmE1E18StripedToBlockedOp6__halfEvPT4_S5_,comdat
.Lfunc_end50:
	.size	_Z20warp_exchange_kernelILj1024ELj4ELj32ELN6hipcub21WarpExchangeAlgorithmE1E18StripedToBlockedOp6__halfEvPT4_S5_, .Lfunc_end50-_Z20warp_exchange_kernelILj1024ELj4ELj32ELN6hipcub21WarpExchangeAlgorithmE1E18StripedToBlockedOp6__halfEvPT4_S5_
                                        ; -- End function
	.section	.AMDGPU.csdata,"",@progbits
; Kernel info:
; codeLenInByte = 372
; NumSgprs: 10
; NumVgprs: 19
; NumAgprs: 0
; TotalNumVgprs: 19
; ScratchSize: 0
; MemoryBound: 0
; FloatMode: 240
; IeeeMode: 1
; LDSByteSize: 0 bytes/workgroup (compile time only)
; SGPRBlocks: 1
; VGPRBlocks: 2
; NumSGPRsForWavesPerEU: 10
; NumVGPRsForWavesPerEU: 19
; AccumOffset: 20
; Occupancy: 8
; WaveLimiterHint : 0
; COMPUTE_PGM_RSRC2:SCRATCH_EN: 0
; COMPUTE_PGM_RSRC2:USER_SGPR: 6
; COMPUTE_PGM_RSRC2:TRAP_HANDLER: 0
; COMPUTE_PGM_RSRC2:TGID_X_EN: 1
; COMPUTE_PGM_RSRC2:TGID_Y_EN: 0
; COMPUTE_PGM_RSRC2:TGID_Z_EN: 0
; COMPUTE_PGM_RSRC2:TIDIG_COMP_CNT: 0
; COMPUTE_PGM_RSRC3_GFX90A:ACCUM_OFFSET: 4
; COMPUTE_PGM_RSRC3_GFX90A:TG_SPLIT: 0
	.section	.text._Z20warp_exchange_kernelILj1024ELj1ELj32ELN6hipcub21WarpExchangeAlgorithmE1E18StripedToBlockedOp6__halfEvPT4_S5_,"axG",@progbits,_Z20warp_exchange_kernelILj1024ELj1ELj32ELN6hipcub21WarpExchangeAlgorithmE1E18StripedToBlockedOp6__halfEvPT4_S5_,comdat
	.protected	_Z20warp_exchange_kernelILj1024ELj1ELj32ELN6hipcub21WarpExchangeAlgorithmE1E18StripedToBlockedOp6__halfEvPT4_S5_ ; -- Begin function _Z20warp_exchange_kernelILj1024ELj1ELj32ELN6hipcub21WarpExchangeAlgorithmE1E18StripedToBlockedOp6__halfEvPT4_S5_
	.globl	_Z20warp_exchange_kernelILj1024ELj1ELj32ELN6hipcub21WarpExchangeAlgorithmE1E18StripedToBlockedOp6__halfEvPT4_S5_
	.p2align	8
	.type	_Z20warp_exchange_kernelILj1024ELj1ELj32ELN6hipcub21WarpExchangeAlgorithmE1E18StripedToBlockedOp6__halfEvPT4_S5_,@function
_Z20warp_exchange_kernelILj1024ELj1ELj32ELN6hipcub21WarpExchangeAlgorithmE1E18StripedToBlockedOp6__halfEvPT4_S5_: ; @_Z20warp_exchange_kernelILj1024ELj1ELj32ELN6hipcub21WarpExchangeAlgorithmE1E18StripedToBlockedOp6__halfEvPT4_S5_
; %bb.0:
	s_load_dwordx4 s[0:3], s[4:5], 0x0
	v_lshlrev_b32_e32 v0, 1, v0
	v_mbcnt_lo_u32_b32 v2, -1, 0
	v_mbcnt_hi_u32_b32 v2, -1, v2
	v_lshlrev_b32_e32 v2, 2, v2
	s_waitcnt lgkmcnt(0)
	global_load_ushort v1, v0, s[0:1]
	s_waitcnt vmcnt(0)
	ds_bpermute_b32 v1, v2, v1
	s_waitcnt lgkmcnt(0)
	global_store_short v0, v1, s[2:3]
	s_endpgm
	.section	.rodata,"a",@progbits
	.p2align	6, 0x0
	.amdhsa_kernel _Z20warp_exchange_kernelILj1024ELj1ELj32ELN6hipcub21WarpExchangeAlgorithmE1E18StripedToBlockedOp6__halfEvPT4_S5_
		.amdhsa_group_segment_fixed_size 0
		.amdhsa_private_segment_fixed_size 0
		.amdhsa_kernarg_size 16
		.amdhsa_user_sgpr_count 6
		.amdhsa_user_sgpr_private_segment_buffer 1
		.amdhsa_user_sgpr_dispatch_ptr 0
		.amdhsa_user_sgpr_queue_ptr 0
		.amdhsa_user_sgpr_kernarg_segment_ptr 1
		.amdhsa_user_sgpr_dispatch_id 0
		.amdhsa_user_sgpr_flat_scratch_init 0
		.amdhsa_user_sgpr_kernarg_preload_length 0
		.amdhsa_user_sgpr_kernarg_preload_offset 0
		.amdhsa_user_sgpr_private_segment_size 0
		.amdhsa_uses_dynamic_stack 0
		.amdhsa_system_sgpr_private_segment_wavefront_offset 0
		.amdhsa_system_sgpr_workgroup_id_x 1
		.amdhsa_system_sgpr_workgroup_id_y 0
		.amdhsa_system_sgpr_workgroup_id_z 0
		.amdhsa_system_sgpr_workgroup_info 0
		.amdhsa_system_vgpr_workitem_id 0
		.amdhsa_next_free_vgpr 3
		.amdhsa_next_free_sgpr 6
		.amdhsa_accum_offset 4
		.amdhsa_reserve_vcc 0
		.amdhsa_reserve_flat_scratch 0
		.amdhsa_float_round_mode_32 0
		.amdhsa_float_round_mode_16_64 0
		.amdhsa_float_denorm_mode_32 3
		.amdhsa_float_denorm_mode_16_64 3
		.amdhsa_dx10_clamp 1
		.amdhsa_ieee_mode 1
		.amdhsa_fp16_overflow 0
		.amdhsa_tg_split 0
		.amdhsa_exception_fp_ieee_invalid_op 0
		.amdhsa_exception_fp_denorm_src 0
		.amdhsa_exception_fp_ieee_div_zero 0
		.amdhsa_exception_fp_ieee_overflow 0
		.amdhsa_exception_fp_ieee_underflow 0
		.amdhsa_exception_fp_ieee_inexact 0
		.amdhsa_exception_int_div_zero 0
	.end_amdhsa_kernel
	.section	.text._Z20warp_exchange_kernelILj1024ELj1ELj32ELN6hipcub21WarpExchangeAlgorithmE1E18StripedToBlockedOp6__halfEvPT4_S5_,"axG",@progbits,_Z20warp_exchange_kernelILj1024ELj1ELj32ELN6hipcub21WarpExchangeAlgorithmE1E18StripedToBlockedOp6__halfEvPT4_S5_,comdat
.Lfunc_end51:
	.size	_Z20warp_exchange_kernelILj1024ELj1ELj32ELN6hipcub21WarpExchangeAlgorithmE1E18StripedToBlockedOp6__halfEvPT4_S5_, .Lfunc_end51-_Z20warp_exchange_kernelILj1024ELj1ELj32ELN6hipcub21WarpExchangeAlgorithmE1E18StripedToBlockedOp6__halfEvPT4_S5_
                                        ; -- End function
	.section	.AMDGPU.csdata,"",@progbits
; Kernel info:
; codeLenInByte = 72
; NumSgprs: 10
; NumVgprs: 3
; NumAgprs: 0
; TotalNumVgprs: 3
; ScratchSize: 0
; MemoryBound: 0
; FloatMode: 240
; IeeeMode: 1
; LDSByteSize: 0 bytes/workgroup (compile time only)
; SGPRBlocks: 1
; VGPRBlocks: 0
; NumSGPRsForWavesPerEU: 10
; NumVGPRsForWavesPerEU: 3
; AccumOffset: 4
; Occupancy: 8
; WaveLimiterHint : 0
; COMPUTE_PGM_RSRC2:SCRATCH_EN: 0
; COMPUTE_PGM_RSRC2:USER_SGPR: 6
; COMPUTE_PGM_RSRC2:TRAP_HANDLER: 0
; COMPUTE_PGM_RSRC2:TGID_X_EN: 1
; COMPUTE_PGM_RSRC2:TGID_Y_EN: 0
; COMPUTE_PGM_RSRC2:TGID_Z_EN: 0
; COMPUTE_PGM_RSRC2:TIDIG_COMP_CNT: 0
; COMPUTE_PGM_RSRC3_GFX90A:ACCUM_OFFSET: 0
; COMPUTE_PGM_RSRC3_GFX90A:TG_SPLIT: 0
	.section	.text._Z20warp_exchange_kernelILj1024ELj4ELj16ELN6hipcub21WarpExchangeAlgorithmE1E18StripedToBlockedOp6__halfEvPT4_S5_,"axG",@progbits,_Z20warp_exchange_kernelILj1024ELj4ELj16ELN6hipcub21WarpExchangeAlgorithmE1E18StripedToBlockedOp6__halfEvPT4_S5_,comdat
	.protected	_Z20warp_exchange_kernelILj1024ELj4ELj16ELN6hipcub21WarpExchangeAlgorithmE1E18StripedToBlockedOp6__halfEvPT4_S5_ ; -- Begin function _Z20warp_exchange_kernelILj1024ELj4ELj16ELN6hipcub21WarpExchangeAlgorithmE1E18StripedToBlockedOp6__halfEvPT4_S5_
	.globl	_Z20warp_exchange_kernelILj1024ELj4ELj16ELN6hipcub21WarpExchangeAlgorithmE1E18StripedToBlockedOp6__halfEvPT4_S5_
	.p2align	8
	.type	_Z20warp_exchange_kernelILj1024ELj4ELj16ELN6hipcub21WarpExchangeAlgorithmE1E18StripedToBlockedOp6__halfEvPT4_S5_,@function
_Z20warp_exchange_kernelILj1024ELj4ELj16ELN6hipcub21WarpExchangeAlgorithmE1E18StripedToBlockedOp6__halfEvPT4_S5_: ; @_Z20warp_exchange_kernelILj1024ELj4ELj16ELN6hipcub21WarpExchangeAlgorithmE1E18StripedToBlockedOp6__halfEvPT4_S5_
; %bb.0:
	s_load_dwordx4 s[0:3], s[4:5], 0x0
	v_lshlrev_b32_e32 v2, 3, v0
	v_mbcnt_lo_u32_b32 v3, -1, 0
	v_mbcnt_hi_u32_b32 v3, -1, v3
	v_lshlrev_b32_e32 v4, 2, v3
	s_waitcnt lgkmcnt(0)
	global_load_dwordx2 v[0:1], v2, s[0:1]
	v_and_b32_e32 v5, 0x70, v3
	v_and_or_b32 v4, v4, 12, v5
	v_lshlrev_b32_e32 v4, 2, v4
	v_bfe_u32 v3, v3, 2, 2
	v_cmp_eq_u32_e32 vcc, 1, v3
	s_mov_b32 s0, 0x5040100
	s_waitcnt vmcnt(0)
	v_lshrrev_b32_e32 v5, 16, v0
	v_and_b32_e32 v0, 0xffff, v0
	v_lshrrev_b32_e32 v6, 16, v1
	v_and_b32_e32 v1, 0xffff, v1
	ds_bpermute_b32 v7, v4, v0
	ds_bpermute_b32 v8, v4, v5
	ds_bpermute_b32 v11, v4, v0 offset:4
	ds_bpermute_b32 v12, v4, v5 offset:4
	;; [unrolled: 1-line block ×6, first 2 shown]
	ds_bpermute_b32 v9, v4, v1
	ds_bpermute_b32 v13, v4, v1 offset:4
	ds_bpermute_b32 v17, v4, v1 offset:8
	ds_bpermute_b32 v1, v4, v1 offset:12
	ds_bpermute_b32 v10, v4, v6
	ds_bpermute_b32 v14, v4, v6 offset:4
	ds_bpermute_b32 v18, v4, v6 offset:8
	ds_bpermute_b32 v4, v4, v6 offset:12
	s_waitcnt lgkmcnt(14)
	v_cndmask_b32_e32 v6, v7, v8, vcc
	s_waitcnt lgkmcnt(12)
	v_cndmask_b32_e32 v7, v11, v12, vcc
	;; [unrolled: 2-line block ×4, first 2 shown]
	v_cmp_eq_u32_e32 vcc, 2, v3
	s_waitcnt lgkmcnt(7)
	v_cndmask_b32_e32 v5, v6, v9, vcc
	s_waitcnt lgkmcnt(6)
	v_cndmask_b32_e32 v6, v7, v13, vcc
	;; [unrolled: 2-line block ×4, first 2 shown]
	v_cmp_eq_u32_e32 vcc, 3, v3
	s_waitcnt lgkmcnt(3)
	v_cndmask_b32_e32 v3, v5, v10, vcc
	s_waitcnt lgkmcnt(2)
	v_cndmask_b32_e32 v5, v6, v14, vcc
	;; [unrolled: 2-line block ×4, first 2 shown]
	v_perm_b32 v1, v0, v1, s0
	v_perm_b32 v0, v5, v3, s0
	global_store_dwordx2 v2, v[0:1], s[2:3]
	s_endpgm
	.section	.rodata,"a",@progbits
	.p2align	6, 0x0
	.amdhsa_kernel _Z20warp_exchange_kernelILj1024ELj4ELj16ELN6hipcub21WarpExchangeAlgorithmE1E18StripedToBlockedOp6__halfEvPT4_S5_
		.amdhsa_group_segment_fixed_size 0
		.amdhsa_private_segment_fixed_size 0
		.amdhsa_kernarg_size 16
		.amdhsa_user_sgpr_count 6
		.amdhsa_user_sgpr_private_segment_buffer 1
		.amdhsa_user_sgpr_dispatch_ptr 0
		.amdhsa_user_sgpr_queue_ptr 0
		.amdhsa_user_sgpr_kernarg_segment_ptr 1
		.amdhsa_user_sgpr_dispatch_id 0
		.amdhsa_user_sgpr_flat_scratch_init 0
		.amdhsa_user_sgpr_kernarg_preload_length 0
		.amdhsa_user_sgpr_kernarg_preload_offset 0
		.amdhsa_user_sgpr_private_segment_size 0
		.amdhsa_uses_dynamic_stack 0
		.amdhsa_system_sgpr_private_segment_wavefront_offset 0
		.amdhsa_system_sgpr_workgroup_id_x 1
		.amdhsa_system_sgpr_workgroup_id_y 0
		.amdhsa_system_sgpr_workgroup_id_z 0
		.amdhsa_system_sgpr_workgroup_info 0
		.amdhsa_system_vgpr_workitem_id 0
		.amdhsa_next_free_vgpr 19
		.amdhsa_next_free_sgpr 6
		.amdhsa_accum_offset 20
		.amdhsa_reserve_vcc 1
		.amdhsa_reserve_flat_scratch 0
		.amdhsa_float_round_mode_32 0
		.amdhsa_float_round_mode_16_64 0
		.amdhsa_float_denorm_mode_32 3
		.amdhsa_float_denorm_mode_16_64 3
		.amdhsa_dx10_clamp 1
		.amdhsa_ieee_mode 1
		.amdhsa_fp16_overflow 0
		.amdhsa_tg_split 0
		.amdhsa_exception_fp_ieee_invalid_op 0
		.amdhsa_exception_fp_denorm_src 0
		.amdhsa_exception_fp_ieee_div_zero 0
		.amdhsa_exception_fp_ieee_overflow 0
		.amdhsa_exception_fp_ieee_underflow 0
		.amdhsa_exception_fp_ieee_inexact 0
		.amdhsa_exception_int_div_zero 0
	.end_amdhsa_kernel
	.section	.text._Z20warp_exchange_kernelILj1024ELj4ELj16ELN6hipcub21WarpExchangeAlgorithmE1E18StripedToBlockedOp6__halfEvPT4_S5_,"axG",@progbits,_Z20warp_exchange_kernelILj1024ELj4ELj16ELN6hipcub21WarpExchangeAlgorithmE1E18StripedToBlockedOp6__halfEvPT4_S5_,comdat
.Lfunc_end52:
	.size	_Z20warp_exchange_kernelILj1024ELj4ELj16ELN6hipcub21WarpExchangeAlgorithmE1E18StripedToBlockedOp6__halfEvPT4_S5_, .Lfunc_end52-_Z20warp_exchange_kernelILj1024ELj4ELj16ELN6hipcub21WarpExchangeAlgorithmE1E18StripedToBlockedOp6__halfEvPT4_S5_
                                        ; -- End function
	.section	.AMDGPU.csdata,"",@progbits
; Kernel info:
; codeLenInByte = 372
; NumSgprs: 10
; NumVgprs: 19
; NumAgprs: 0
; TotalNumVgprs: 19
; ScratchSize: 0
; MemoryBound: 0
; FloatMode: 240
; IeeeMode: 1
; LDSByteSize: 0 bytes/workgroup (compile time only)
; SGPRBlocks: 1
; VGPRBlocks: 2
; NumSGPRsForWavesPerEU: 10
; NumVGPRsForWavesPerEU: 19
; AccumOffset: 20
; Occupancy: 8
; WaveLimiterHint : 0
; COMPUTE_PGM_RSRC2:SCRATCH_EN: 0
; COMPUTE_PGM_RSRC2:USER_SGPR: 6
; COMPUTE_PGM_RSRC2:TRAP_HANDLER: 0
; COMPUTE_PGM_RSRC2:TGID_X_EN: 1
; COMPUTE_PGM_RSRC2:TGID_Y_EN: 0
; COMPUTE_PGM_RSRC2:TGID_Z_EN: 0
; COMPUTE_PGM_RSRC2:TIDIG_COMP_CNT: 0
; COMPUTE_PGM_RSRC3_GFX90A:ACCUM_OFFSET: 4
; COMPUTE_PGM_RSRC3_GFX90A:TG_SPLIT: 0
	.section	.text._Z20warp_exchange_kernelILj1024ELj1ELj16ELN6hipcub21WarpExchangeAlgorithmE1E18StripedToBlockedOp6__halfEvPT4_S5_,"axG",@progbits,_Z20warp_exchange_kernelILj1024ELj1ELj16ELN6hipcub21WarpExchangeAlgorithmE1E18StripedToBlockedOp6__halfEvPT4_S5_,comdat
	.protected	_Z20warp_exchange_kernelILj1024ELj1ELj16ELN6hipcub21WarpExchangeAlgorithmE1E18StripedToBlockedOp6__halfEvPT4_S5_ ; -- Begin function _Z20warp_exchange_kernelILj1024ELj1ELj16ELN6hipcub21WarpExchangeAlgorithmE1E18StripedToBlockedOp6__halfEvPT4_S5_
	.globl	_Z20warp_exchange_kernelILj1024ELj1ELj16ELN6hipcub21WarpExchangeAlgorithmE1E18StripedToBlockedOp6__halfEvPT4_S5_
	.p2align	8
	.type	_Z20warp_exchange_kernelILj1024ELj1ELj16ELN6hipcub21WarpExchangeAlgorithmE1E18StripedToBlockedOp6__halfEvPT4_S5_,@function
_Z20warp_exchange_kernelILj1024ELj1ELj16ELN6hipcub21WarpExchangeAlgorithmE1E18StripedToBlockedOp6__halfEvPT4_S5_: ; @_Z20warp_exchange_kernelILj1024ELj1ELj16ELN6hipcub21WarpExchangeAlgorithmE1E18StripedToBlockedOp6__halfEvPT4_S5_
; %bb.0:
	s_load_dwordx4 s[0:3], s[4:5], 0x0
	v_lshlrev_b32_e32 v0, 1, v0
	v_mbcnt_lo_u32_b32 v2, -1, 0
	v_mbcnt_hi_u32_b32 v2, -1, v2
	v_lshlrev_b32_e32 v2, 2, v2
	s_waitcnt lgkmcnt(0)
	global_load_ushort v1, v0, s[0:1]
	s_waitcnt vmcnt(0)
	ds_bpermute_b32 v1, v2, v1
	s_waitcnt lgkmcnt(0)
	global_store_short v0, v1, s[2:3]
	s_endpgm
	.section	.rodata,"a",@progbits
	.p2align	6, 0x0
	.amdhsa_kernel _Z20warp_exchange_kernelILj1024ELj1ELj16ELN6hipcub21WarpExchangeAlgorithmE1E18StripedToBlockedOp6__halfEvPT4_S5_
		.amdhsa_group_segment_fixed_size 0
		.amdhsa_private_segment_fixed_size 0
		.amdhsa_kernarg_size 16
		.amdhsa_user_sgpr_count 6
		.amdhsa_user_sgpr_private_segment_buffer 1
		.amdhsa_user_sgpr_dispatch_ptr 0
		.amdhsa_user_sgpr_queue_ptr 0
		.amdhsa_user_sgpr_kernarg_segment_ptr 1
		.amdhsa_user_sgpr_dispatch_id 0
		.amdhsa_user_sgpr_flat_scratch_init 0
		.amdhsa_user_sgpr_kernarg_preload_length 0
		.amdhsa_user_sgpr_kernarg_preload_offset 0
		.amdhsa_user_sgpr_private_segment_size 0
		.amdhsa_uses_dynamic_stack 0
		.amdhsa_system_sgpr_private_segment_wavefront_offset 0
		.amdhsa_system_sgpr_workgroup_id_x 1
		.amdhsa_system_sgpr_workgroup_id_y 0
		.amdhsa_system_sgpr_workgroup_id_z 0
		.amdhsa_system_sgpr_workgroup_info 0
		.amdhsa_system_vgpr_workitem_id 0
		.amdhsa_next_free_vgpr 3
		.amdhsa_next_free_sgpr 6
		.amdhsa_accum_offset 4
		.amdhsa_reserve_vcc 0
		.amdhsa_reserve_flat_scratch 0
		.amdhsa_float_round_mode_32 0
		.amdhsa_float_round_mode_16_64 0
		.amdhsa_float_denorm_mode_32 3
		.amdhsa_float_denorm_mode_16_64 3
		.amdhsa_dx10_clamp 1
		.amdhsa_ieee_mode 1
		.amdhsa_fp16_overflow 0
		.amdhsa_tg_split 0
		.amdhsa_exception_fp_ieee_invalid_op 0
		.amdhsa_exception_fp_denorm_src 0
		.amdhsa_exception_fp_ieee_div_zero 0
		.amdhsa_exception_fp_ieee_overflow 0
		.amdhsa_exception_fp_ieee_underflow 0
		.amdhsa_exception_fp_ieee_inexact 0
		.amdhsa_exception_int_div_zero 0
	.end_amdhsa_kernel
	.section	.text._Z20warp_exchange_kernelILj1024ELj1ELj16ELN6hipcub21WarpExchangeAlgorithmE1E18StripedToBlockedOp6__halfEvPT4_S5_,"axG",@progbits,_Z20warp_exchange_kernelILj1024ELj1ELj16ELN6hipcub21WarpExchangeAlgorithmE1E18StripedToBlockedOp6__halfEvPT4_S5_,comdat
.Lfunc_end53:
	.size	_Z20warp_exchange_kernelILj1024ELj1ELj16ELN6hipcub21WarpExchangeAlgorithmE1E18StripedToBlockedOp6__halfEvPT4_S5_, .Lfunc_end53-_Z20warp_exchange_kernelILj1024ELj1ELj16ELN6hipcub21WarpExchangeAlgorithmE1E18StripedToBlockedOp6__halfEvPT4_S5_
                                        ; -- End function
	.section	.AMDGPU.csdata,"",@progbits
; Kernel info:
; codeLenInByte = 72
; NumSgprs: 10
; NumVgprs: 3
; NumAgprs: 0
; TotalNumVgprs: 3
; ScratchSize: 0
; MemoryBound: 0
; FloatMode: 240
; IeeeMode: 1
; LDSByteSize: 0 bytes/workgroup (compile time only)
; SGPRBlocks: 1
; VGPRBlocks: 0
; NumSGPRsForWavesPerEU: 10
; NumVGPRsForWavesPerEU: 3
; AccumOffset: 4
; Occupancy: 8
; WaveLimiterHint : 0
; COMPUTE_PGM_RSRC2:SCRATCH_EN: 0
; COMPUTE_PGM_RSRC2:USER_SGPR: 6
; COMPUTE_PGM_RSRC2:TRAP_HANDLER: 0
; COMPUTE_PGM_RSRC2:TGID_X_EN: 1
; COMPUTE_PGM_RSRC2:TGID_Y_EN: 0
; COMPUTE_PGM_RSRC2:TGID_Z_EN: 0
; COMPUTE_PGM_RSRC2:TIDIG_COMP_CNT: 0
; COMPUTE_PGM_RSRC3_GFX90A:ACCUM_OFFSET: 0
; COMPUTE_PGM_RSRC3_GFX90A:TG_SPLIT: 0
	.section	.text._Z20warp_exchange_kernelILj1024ELj4ELj8ELN6hipcub21WarpExchangeAlgorithmE1E18StripedToBlockedOp6__halfEvPT4_S5_,"axG",@progbits,_Z20warp_exchange_kernelILj1024ELj4ELj8ELN6hipcub21WarpExchangeAlgorithmE1E18StripedToBlockedOp6__halfEvPT4_S5_,comdat
	.protected	_Z20warp_exchange_kernelILj1024ELj4ELj8ELN6hipcub21WarpExchangeAlgorithmE1E18StripedToBlockedOp6__halfEvPT4_S5_ ; -- Begin function _Z20warp_exchange_kernelILj1024ELj4ELj8ELN6hipcub21WarpExchangeAlgorithmE1E18StripedToBlockedOp6__halfEvPT4_S5_
	.globl	_Z20warp_exchange_kernelILj1024ELj4ELj8ELN6hipcub21WarpExchangeAlgorithmE1E18StripedToBlockedOp6__halfEvPT4_S5_
	.p2align	8
	.type	_Z20warp_exchange_kernelILj1024ELj4ELj8ELN6hipcub21WarpExchangeAlgorithmE1E18StripedToBlockedOp6__halfEvPT4_S5_,@function
_Z20warp_exchange_kernelILj1024ELj4ELj8ELN6hipcub21WarpExchangeAlgorithmE1E18StripedToBlockedOp6__halfEvPT4_S5_: ; @_Z20warp_exchange_kernelILj1024ELj4ELj8ELN6hipcub21WarpExchangeAlgorithmE1E18StripedToBlockedOp6__halfEvPT4_S5_
; %bb.0:
	s_load_dwordx4 s[0:3], s[4:5], 0x0
	v_lshlrev_b32_e32 v2, 3, v0
	v_mbcnt_lo_u32_b32 v3, -1, 0
	v_mbcnt_hi_u32_b32 v3, -1, v3
	v_lshlrev_b32_e32 v4, 2, v3
	s_waitcnt lgkmcnt(0)
	global_load_dwordx2 v[0:1], v2, s[0:1]
	v_and_b32_e32 v5, 0x78, v3
	v_and_or_b32 v4, v4, 4, v5
	v_lshlrev_b32_e32 v4, 2, v4
	v_bfe_u32 v3, v3, 1, 2
	v_cmp_eq_u32_e32 vcc, 1, v3
	s_mov_b32 s0, 0x5040100
	s_waitcnt vmcnt(0)
	v_lshrrev_b32_e32 v5, 16, v0
	v_and_b32_e32 v0, 0xffff, v0
	v_lshrrev_b32_e32 v6, 16, v1
	v_and_b32_e32 v1, 0xffff, v1
	ds_bpermute_b32 v7, v4, v0
	ds_bpermute_b32 v8, v4, v5
	ds_bpermute_b32 v11, v4, v0 offset:4
	ds_bpermute_b32 v12, v4, v5 offset:4
	;; [unrolled: 1-line block ×6, first 2 shown]
	ds_bpermute_b32 v9, v4, v1
	ds_bpermute_b32 v13, v4, v1 offset:4
	ds_bpermute_b32 v17, v4, v1 offset:8
	;; [unrolled: 1-line block ×3, first 2 shown]
	ds_bpermute_b32 v10, v4, v6
	ds_bpermute_b32 v14, v4, v6 offset:4
	ds_bpermute_b32 v18, v4, v6 offset:8
	;; [unrolled: 1-line block ×3, first 2 shown]
	s_waitcnt lgkmcnt(14)
	v_cndmask_b32_e32 v6, v7, v8, vcc
	s_waitcnt lgkmcnt(12)
	v_cndmask_b32_e32 v7, v11, v12, vcc
	;; [unrolled: 2-line block ×4, first 2 shown]
	v_cmp_eq_u32_e32 vcc, 2, v3
	s_waitcnt lgkmcnt(7)
	v_cndmask_b32_e32 v5, v6, v9, vcc
	s_waitcnt lgkmcnt(6)
	v_cndmask_b32_e32 v6, v7, v13, vcc
	;; [unrolled: 2-line block ×4, first 2 shown]
	v_cmp_eq_u32_e32 vcc, 3, v3
	s_waitcnt lgkmcnt(3)
	v_cndmask_b32_e32 v3, v5, v10, vcc
	s_waitcnt lgkmcnt(2)
	v_cndmask_b32_e32 v5, v6, v14, vcc
	;; [unrolled: 2-line block ×4, first 2 shown]
	v_perm_b32 v1, v0, v1, s0
	v_perm_b32 v0, v5, v3, s0
	global_store_dwordx2 v2, v[0:1], s[2:3]
	s_endpgm
	.section	.rodata,"a",@progbits
	.p2align	6, 0x0
	.amdhsa_kernel _Z20warp_exchange_kernelILj1024ELj4ELj8ELN6hipcub21WarpExchangeAlgorithmE1E18StripedToBlockedOp6__halfEvPT4_S5_
		.amdhsa_group_segment_fixed_size 0
		.amdhsa_private_segment_fixed_size 0
		.amdhsa_kernarg_size 16
		.amdhsa_user_sgpr_count 6
		.amdhsa_user_sgpr_private_segment_buffer 1
		.amdhsa_user_sgpr_dispatch_ptr 0
		.amdhsa_user_sgpr_queue_ptr 0
		.amdhsa_user_sgpr_kernarg_segment_ptr 1
		.amdhsa_user_sgpr_dispatch_id 0
		.amdhsa_user_sgpr_flat_scratch_init 0
		.amdhsa_user_sgpr_kernarg_preload_length 0
		.amdhsa_user_sgpr_kernarg_preload_offset 0
		.amdhsa_user_sgpr_private_segment_size 0
		.amdhsa_uses_dynamic_stack 0
		.amdhsa_system_sgpr_private_segment_wavefront_offset 0
		.amdhsa_system_sgpr_workgroup_id_x 1
		.amdhsa_system_sgpr_workgroup_id_y 0
		.amdhsa_system_sgpr_workgroup_id_z 0
		.amdhsa_system_sgpr_workgroup_info 0
		.amdhsa_system_vgpr_workitem_id 0
		.amdhsa_next_free_vgpr 19
		.amdhsa_next_free_sgpr 6
		.amdhsa_accum_offset 20
		.amdhsa_reserve_vcc 1
		.amdhsa_reserve_flat_scratch 0
		.amdhsa_float_round_mode_32 0
		.amdhsa_float_round_mode_16_64 0
		.amdhsa_float_denorm_mode_32 3
		.amdhsa_float_denorm_mode_16_64 3
		.amdhsa_dx10_clamp 1
		.amdhsa_ieee_mode 1
		.amdhsa_fp16_overflow 0
		.amdhsa_tg_split 0
		.amdhsa_exception_fp_ieee_invalid_op 0
		.amdhsa_exception_fp_denorm_src 0
		.amdhsa_exception_fp_ieee_div_zero 0
		.amdhsa_exception_fp_ieee_overflow 0
		.amdhsa_exception_fp_ieee_underflow 0
		.amdhsa_exception_fp_ieee_inexact 0
		.amdhsa_exception_int_div_zero 0
	.end_amdhsa_kernel
	.section	.text._Z20warp_exchange_kernelILj1024ELj4ELj8ELN6hipcub21WarpExchangeAlgorithmE1E18StripedToBlockedOp6__halfEvPT4_S5_,"axG",@progbits,_Z20warp_exchange_kernelILj1024ELj4ELj8ELN6hipcub21WarpExchangeAlgorithmE1E18StripedToBlockedOp6__halfEvPT4_S5_,comdat
.Lfunc_end54:
	.size	_Z20warp_exchange_kernelILj1024ELj4ELj8ELN6hipcub21WarpExchangeAlgorithmE1E18StripedToBlockedOp6__halfEvPT4_S5_, .Lfunc_end54-_Z20warp_exchange_kernelILj1024ELj4ELj8ELN6hipcub21WarpExchangeAlgorithmE1E18StripedToBlockedOp6__halfEvPT4_S5_
                                        ; -- End function
	.section	.AMDGPU.csdata,"",@progbits
; Kernel info:
; codeLenInByte = 372
; NumSgprs: 10
; NumVgprs: 19
; NumAgprs: 0
; TotalNumVgprs: 19
; ScratchSize: 0
; MemoryBound: 0
; FloatMode: 240
; IeeeMode: 1
; LDSByteSize: 0 bytes/workgroup (compile time only)
; SGPRBlocks: 1
; VGPRBlocks: 2
; NumSGPRsForWavesPerEU: 10
; NumVGPRsForWavesPerEU: 19
; AccumOffset: 20
; Occupancy: 8
; WaveLimiterHint : 0
; COMPUTE_PGM_RSRC2:SCRATCH_EN: 0
; COMPUTE_PGM_RSRC2:USER_SGPR: 6
; COMPUTE_PGM_RSRC2:TRAP_HANDLER: 0
; COMPUTE_PGM_RSRC2:TGID_X_EN: 1
; COMPUTE_PGM_RSRC2:TGID_Y_EN: 0
; COMPUTE_PGM_RSRC2:TGID_Z_EN: 0
; COMPUTE_PGM_RSRC2:TIDIG_COMP_CNT: 0
; COMPUTE_PGM_RSRC3_GFX90A:ACCUM_OFFSET: 4
; COMPUTE_PGM_RSRC3_GFX90A:TG_SPLIT: 0
	.section	.text._Z20warp_exchange_kernelILj1024ELj1ELj8ELN6hipcub21WarpExchangeAlgorithmE1E18StripedToBlockedOp6__halfEvPT4_S5_,"axG",@progbits,_Z20warp_exchange_kernelILj1024ELj1ELj8ELN6hipcub21WarpExchangeAlgorithmE1E18StripedToBlockedOp6__halfEvPT4_S5_,comdat
	.protected	_Z20warp_exchange_kernelILj1024ELj1ELj8ELN6hipcub21WarpExchangeAlgorithmE1E18StripedToBlockedOp6__halfEvPT4_S5_ ; -- Begin function _Z20warp_exchange_kernelILj1024ELj1ELj8ELN6hipcub21WarpExchangeAlgorithmE1E18StripedToBlockedOp6__halfEvPT4_S5_
	.globl	_Z20warp_exchange_kernelILj1024ELj1ELj8ELN6hipcub21WarpExchangeAlgorithmE1E18StripedToBlockedOp6__halfEvPT4_S5_
	.p2align	8
	.type	_Z20warp_exchange_kernelILj1024ELj1ELj8ELN6hipcub21WarpExchangeAlgorithmE1E18StripedToBlockedOp6__halfEvPT4_S5_,@function
_Z20warp_exchange_kernelILj1024ELj1ELj8ELN6hipcub21WarpExchangeAlgorithmE1E18StripedToBlockedOp6__halfEvPT4_S5_: ; @_Z20warp_exchange_kernelILj1024ELj1ELj8ELN6hipcub21WarpExchangeAlgorithmE1E18StripedToBlockedOp6__halfEvPT4_S5_
; %bb.0:
	s_load_dwordx4 s[0:3], s[4:5], 0x0
	v_lshlrev_b32_e32 v0, 1, v0
	v_mbcnt_lo_u32_b32 v2, -1, 0
	v_mbcnt_hi_u32_b32 v2, -1, v2
	v_lshlrev_b32_e32 v2, 2, v2
	s_waitcnt lgkmcnt(0)
	global_load_ushort v1, v0, s[0:1]
	s_waitcnt vmcnt(0)
	ds_bpermute_b32 v1, v2, v1
	s_waitcnt lgkmcnt(0)
	global_store_short v0, v1, s[2:3]
	s_endpgm
	.section	.rodata,"a",@progbits
	.p2align	6, 0x0
	.amdhsa_kernel _Z20warp_exchange_kernelILj1024ELj1ELj8ELN6hipcub21WarpExchangeAlgorithmE1E18StripedToBlockedOp6__halfEvPT4_S5_
		.amdhsa_group_segment_fixed_size 0
		.amdhsa_private_segment_fixed_size 0
		.amdhsa_kernarg_size 16
		.amdhsa_user_sgpr_count 6
		.amdhsa_user_sgpr_private_segment_buffer 1
		.amdhsa_user_sgpr_dispatch_ptr 0
		.amdhsa_user_sgpr_queue_ptr 0
		.amdhsa_user_sgpr_kernarg_segment_ptr 1
		.amdhsa_user_sgpr_dispatch_id 0
		.amdhsa_user_sgpr_flat_scratch_init 0
		.amdhsa_user_sgpr_kernarg_preload_length 0
		.amdhsa_user_sgpr_kernarg_preload_offset 0
		.amdhsa_user_sgpr_private_segment_size 0
		.amdhsa_uses_dynamic_stack 0
		.amdhsa_system_sgpr_private_segment_wavefront_offset 0
		.amdhsa_system_sgpr_workgroup_id_x 1
		.amdhsa_system_sgpr_workgroup_id_y 0
		.amdhsa_system_sgpr_workgroup_id_z 0
		.amdhsa_system_sgpr_workgroup_info 0
		.amdhsa_system_vgpr_workitem_id 0
		.amdhsa_next_free_vgpr 3
		.amdhsa_next_free_sgpr 6
		.amdhsa_accum_offset 4
		.amdhsa_reserve_vcc 0
		.amdhsa_reserve_flat_scratch 0
		.amdhsa_float_round_mode_32 0
		.amdhsa_float_round_mode_16_64 0
		.amdhsa_float_denorm_mode_32 3
		.amdhsa_float_denorm_mode_16_64 3
		.amdhsa_dx10_clamp 1
		.amdhsa_ieee_mode 1
		.amdhsa_fp16_overflow 0
		.amdhsa_tg_split 0
		.amdhsa_exception_fp_ieee_invalid_op 0
		.amdhsa_exception_fp_denorm_src 0
		.amdhsa_exception_fp_ieee_div_zero 0
		.amdhsa_exception_fp_ieee_overflow 0
		.amdhsa_exception_fp_ieee_underflow 0
		.amdhsa_exception_fp_ieee_inexact 0
		.amdhsa_exception_int_div_zero 0
	.end_amdhsa_kernel
	.section	.text._Z20warp_exchange_kernelILj1024ELj1ELj8ELN6hipcub21WarpExchangeAlgorithmE1E18StripedToBlockedOp6__halfEvPT4_S5_,"axG",@progbits,_Z20warp_exchange_kernelILj1024ELj1ELj8ELN6hipcub21WarpExchangeAlgorithmE1E18StripedToBlockedOp6__halfEvPT4_S5_,comdat
.Lfunc_end55:
	.size	_Z20warp_exchange_kernelILj1024ELj1ELj8ELN6hipcub21WarpExchangeAlgorithmE1E18StripedToBlockedOp6__halfEvPT4_S5_, .Lfunc_end55-_Z20warp_exchange_kernelILj1024ELj1ELj8ELN6hipcub21WarpExchangeAlgorithmE1E18StripedToBlockedOp6__halfEvPT4_S5_
                                        ; -- End function
	.section	.AMDGPU.csdata,"",@progbits
; Kernel info:
; codeLenInByte = 72
; NumSgprs: 10
; NumVgprs: 3
; NumAgprs: 0
; TotalNumVgprs: 3
; ScratchSize: 0
; MemoryBound: 0
; FloatMode: 240
; IeeeMode: 1
; LDSByteSize: 0 bytes/workgroup (compile time only)
; SGPRBlocks: 1
; VGPRBlocks: 0
; NumSGPRsForWavesPerEU: 10
; NumVGPRsForWavesPerEU: 3
; AccumOffset: 4
; Occupancy: 8
; WaveLimiterHint : 0
; COMPUTE_PGM_RSRC2:SCRATCH_EN: 0
; COMPUTE_PGM_RSRC2:USER_SGPR: 6
; COMPUTE_PGM_RSRC2:TRAP_HANDLER: 0
; COMPUTE_PGM_RSRC2:TGID_X_EN: 1
; COMPUTE_PGM_RSRC2:TGID_Y_EN: 0
; COMPUTE_PGM_RSRC2:TGID_Z_EN: 0
; COMPUTE_PGM_RSRC2:TIDIG_COMP_CNT: 0
; COMPUTE_PGM_RSRC3_GFX90A:ACCUM_OFFSET: 0
; COMPUTE_PGM_RSRC3_GFX90A:TG_SPLIT: 0
	.section	.text._Z20warp_exchange_kernelILj1024ELj4ELj64ELN6hipcub21WarpExchangeAlgorithmE1E18StripedToBlockedOpdEvPT4_S4_,"axG",@progbits,_Z20warp_exchange_kernelILj1024ELj4ELj64ELN6hipcub21WarpExchangeAlgorithmE1E18StripedToBlockedOpdEvPT4_S4_,comdat
	.protected	_Z20warp_exchange_kernelILj1024ELj4ELj64ELN6hipcub21WarpExchangeAlgorithmE1E18StripedToBlockedOpdEvPT4_S4_ ; -- Begin function _Z20warp_exchange_kernelILj1024ELj4ELj64ELN6hipcub21WarpExchangeAlgorithmE1E18StripedToBlockedOpdEvPT4_S4_
	.globl	_Z20warp_exchange_kernelILj1024ELj4ELj64ELN6hipcub21WarpExchangeAlgorithmE1E18StripedToBlockedOpdEvPT4_S4_
	.p2align	8
	.type	_Z20warp_exchange_kernelILj1024ELj4ELj64ELN6hipcub21WarpExchangeAlgorithmE1E18StripedToBlockedOpdEvPT4_S4_,@function
_Z20warp_exchange_kernelILj1024ELj4ELj64ELN6hipcub21WarpExchangeAlgorithmE1E18StripedToBlockedOpdEvPT4_S4_: ; @_Z20warp_exchange_kernelILj1024ELj4ELj64ELN6hipcub21WarpExchangeAlgorithmE1E18StripedToBlockedOpdEvPT4_S4_
; %bb.0:
	s_load_dwordx4 s[0:3], s[4:5], 0x0
	v_lshlrev_b32_e32 v8, 5, v0
	v_mbcnt_lo_u32_b32 v9, -1, 0
	v_mbcnt_hi_u32_b32 v9, -1, v9
	v_lshlrev_b32_e32 v10, 2, v9
	s_waitcnt lgkmcnt(0)
	global_load_dwordx4 v[0:3], v8, s[0:1]
	global_load_dwordx4 v[4:7], v8, s[0:1] offset:16
	v_and_b32_e32 v11, 64, v9
	v_and_or_b32 v10, v10, 60, v11
	v_lshlrev_b32_e32 v10, 2, v10
	v_lshrrev_b32_e32 v9, 4, v9
	v_cmp_eq_u32_e32 vcc, 1, v9
	s_waitcnt vmcnt(1)
	ds_bpermute_b32 v11, v10, v0
	ds_bpermute_b32 v12, v10, v1
	;; [unrolled: 1-line block ×4, first 2 shown]
	ds_bpermute_b32 v19, v10, v0 offset:4
	ds_bpermute_b32 v20, v10, v1 offset:4
	;; [unrolled: 1-line block ×12, first 2 shown]
	s_waitcnt vmcnt(0)
	ds_bpermute_b32 v15, v10, v4
	ds_bpermute_b32 v16, v10, v5
	ds_bpermute_b32 v23, v10, v4 offset:4
	ds_bpermute_b32 v24, v10, v5 offset:4
	;; [unrolled: 1-line block ×6, first 2 shown]
	ds_bpermute_b32 v17, v10, v6
	ds_bpermute_b32 v18, v10, v7
	ds_bpermute_b32 v25, v10, v6 offset:4
	ds_bpermute_b32 v26, v10, v7 offset:4
	;; [unrolled: 1-line block ×6, first 2 shown]
	s_waitcnt lgkmcnt(14)
	v_cndmask_b32_e32 v10, v12, v14, vcc
	v_cndmask_b32_e32 v11, v11, v13, vcc
	;; [unrolled: 1-line block ×8, first 2 shown]
	v_cmp_eq_u32_e32 vcc, 2, v9
	v_cndmask_b32_e32 v2, v11, v15, vcc
	v_cndmask_b32_e32 v3, v10, v16, vcc
	s_waitcnt lgkmcnt(13)
	v_cndmask_b32_e32 v10, v13, v23, vcc
	s_waitcnt lgkmcnt(12)
	;; [unrolled: 2-line block ×6, first 2 shown]
	v_cndmask_b32_e32 v15, v1, v5, vcc
	v_cmp_eq_u32_e32 vcc, 3, v9
	s_waitcnt lgkmcnt(6)
	v_cndmask_b32_e32 v1, v3, v18, vcc
	v_cndmask_b32_e32 v0, v2, v17, vcc
	s_waitcnt lgkmcnt(4)
	v_cndmask_b32_e32 v3, v11, v26, vcc
	v_cndmask_b32_e32 v2, v10, v25, vcc
	;; [unrolled: 3-line block ×4, first 2 shown]
	global_store_dwordx4 v8, v[0:3], s[2:3]
	global_store_dwordx4 v8, v[4:7], s[2:3] offset:16
	s_endpgm
	.section	.rodata,"a",@progbits
	.p2align	6, 0x0
	.amdhsa_kernel _Z20warp_exchange_kernelILj1024ELj4ELj64ELN6hipcub21WarpExchangeAlgorithmE1E18StripedToBlockedOpdEvPT4_S4_
		.amdhsa_group_segment_fixed_size 0
		.amdhsa_private_segment_fixed_size 0
		.amdhsa_kernarg_size 16
		.amdhsa_user_sgpr_count 6
		.amdhsa_user_sgpr_private_segment_buffer 1
		.amdhsa_user_sgpr_dispatch_ptr 0
		.amdhsa_user_sgpr_queue_ptr 0
		.amdhsa_user_sgpr_kernarg_segment_ptr 1
		.amdhsa_user_sgpr_dispatch_id 0
		.amdhsa_user_sgpr_flat_scratch_init 0
		.amdhsa_user_sgpr_kernarg_preload_length 0
		.amdhsa_user_sgpr_kernarg_preload_offset 0
		.amdhsa_user_sgpr_private_segment_size 0
		.amdhsa_uses_dynamic_stack 0
		.amdhsa_system_sgpr_private_segment_wavefront_offset 0
		.amdhsa_system_sgpr_workgroup_id_x 1
		.amdhsa_system_sgpr_workgroup_id_y 0
		.amdhsa_system_sgpr_workgroup_id_z 0
		.amdhsa_system_sgpr_workgroup_info 0
		.amdhsa_system_vgpr_workitem_id 0
		.amdhsa_next_free_vgpr 35
		.amdhsa_next_free_sgpr 6
		.amdhsa_accum_offset 36
		.amdhsa_reserve_vcc 1
		.amdhsa_reserve_flat_scratch 0
		.amdhsa_float_round_mode_32 0
		.amdhsa_float_round_mode_16_64 0
		.amdhsa_float_denorm_mode_32 3
		.amdhsa_float_denorm_mode_16_64 3
		.amdhsa_dx10_clamp 1
		.amdhsa_ieee_mode 1
		.amdhsa_fp16_overflow 0
		.amdhsa_tg_split 0
		.amdhsa_exception_fp_ieee_invalid_op 0
		.amdhsa_exception_fp_denorm_src 0
		.amdhsa_exception_fp_ieee_div_zero 0
		.amdhsa_exception_fp_ieee_overflow 0
		.amdhsa_exception_fp_ieee_underflow 0
		.amdhsa_exception_fp_ieee_inexact 0
		.amdhsa_exception_int_div_zero 0
	.end_amdhsa_kernel
	.section	.text._Z20warp_exchange_kernelILj1024ELj4ELj64ELN6hipcub21WarpExchangeAlgorithmE1E18StripedToBlockedOpdEvPT4_S4_,"axG",@progbits,_Z20warp_exchange_kernelILj1024ELj4ELj64ELN6hipcub21WarpExchangeAlgorithmE1E18StripedToBlockedOpdEvPT4_S4_,comdat
.Lfunc_end56:
	.size	_Z20warp_exchange_kernelILj1024ELj4ELj64ELN6hipcub21WarpExchangeAlgorithmE1E18StripedToBlockedOpdEvPT4_S4_, .Lfunc_end56-_Z20warp_exchange_kernelILj1024ELj4ELj64ELN6hipcub21WarpExchangeAlgorithmE1E18StripedToBlockedOpdEvPT4_S4_
                                        ; -- End function
	.section	.AMDGPU.csdata,"",@progbits
; Kernel info:
; codeLenInByte = 508
; NumSgprs: 10
; NumVgprs: 35
; NumAgprs: 0
; TotalNumVgprs: 35
; ScratchSize: 0
; MemoryBound: 0
; FloatMode: 240
; IeeeMode: 1
; LDSByteSize: 0 bytes/workgroup (compile time only)
; SGPRBlocks: 1
; VGPRBlocks: 4
; NumSGPRsForWavesPerEU: 10
; NumVGPRsForWavesPerEU: 35
; AccumOffset: 36
; Occupancy: 8
; WaveLimiterHint : 0
; COMPUTE_PGM_RSRC2:SCRATCH_EN: 0
; COMPUTE_PGM_RSRC2:USER_SGPR: 6
; COMPUTE_PGM_RSRC2:TRAP_HANDLER: 0
; COMPUTE_PGM_RSRC2:TGID_X_EN: 1
; COMPUTE_PGM_RSRC2:TGID_Y_EN: 0
; COMPUTE_PGM_RSRC2:TGID_Z_EN: 0
; COMPUTE_PGM_RSRC2:TIDIG_COMP_CNT: 0
; COMPUTE_PGM_RSRC3_GFX90A:ACCUM_OFFSET: 8
; COMPUTE_PGM_RSRC3_GFX90A:TG_SPLIT: 0
	.section	.text._Z20warp_exchange_kernelILj1024ELj1ELj64ELN6hipcub21WarpExchangeAlgorithmE1E18StripedToBlockedOpdEvPT4_S4_,"axG",@progbits,_Z20warp_exchange_kernelILj1024ELj1ELj64ELN6hipcub21WarpExchangeAlgorithmE1E18StripedToBlockedOpdEvPT4_S4_,comdat
	.protected	_Z20warp_exchange_kernelILj1024ELj1ELj64ELN6hipcub21WarpExchangeAlgorithmE1E18StripedToBlockedOpdEvPT4_S4_ ; -- Begin function _Z20warp_exchange_kernelILj1024ELj1ELj64ELN6hipcub21WarpExchangeAlgorithmE1E18StripedToBlockedOpdEvPT4_S4_
	.globl	_Z20warp_exchange_kernelILj1024ELj1ELj64ELN6hipcub21WarpExchangeAlgorithmE1E18StripedToBlockedOpdEvPT4_S4_
	.p2align	8
	.type	_Z20warp_exchange_kernelILj1024ELj1ELj64ELN6hipcub21WarpExchangeAlgorithmE1E18StripedToBlockedOpdEvPT4_S4_,@function
_Z20warp_exchange_kernelILj1024ELj1ELj64ELN6hipcub21WarpExchangeAlgorithmE1E18StripedToBlockedOpdEvPT4_S4_: ; @_Z20warp_exchange_kernelILj1024ELj1ELj64ELN6hipcub21WarpExchangeAlgorithmE1E18StripedToBlockedOpdEvPT4_S4_
; %bb.0:
	s_load_dwordx4 s[0:3], s[4:5], 0x0
	v_lshlrev_b32_e32 v2, 3, v0
	v_mbcnt_lo_u32_b32 v3, -1, 0
	v_mbcnt_hi_u32_b32 v3, -1, v3
	v_lshlrev_b32_e32 v3, 2, v3
	s_waitcnt lgkmcnt(0)
	global_load_dwordx2 v[0:1], v2, s[0:1]
	s_waitcnt vmcnt(0)
	ds_bpermute_b32 v0, v3, v0
	ds_bpermute_b32 v1, v3, v1
	s_waitcnt lgkmcnt(0)
	global_store_dwordx2 v2, v[0:1], s[2:3]
	s_endpgm
	.section	.rodata,"a",@progbits
	.p2align	6, 0x0
	.amdhsa_kernel _Z20warp_exchange_kernelILj1024ELj1ELj64ELN6hipcub21WarpExchangeAlgorithmE1E18StripedToBlockedOpdEvPT4_S4_
		.amdhsa_group_segment_fixed_size 0
		.amdhsa_private_segment_fixed_size 0
		.amdhsa_kernarg_size 16
		.amdhsa_user_sgpr_count 6
		.amdhsa_user_sgpr_private_segment_buffer 1
		.amdhsa_user_sgpr_dispatch_ptr 0
		.amdhsa_user_sgpr_queue_ptr 0
		.amdhsa_user_sgpr_kernarg_segment_ptr 1
		.amdhsa_user_sgpr_dispatch_id 0
		.amdhsa_user_sgpr_flat_scratch_init 0
		.amdhsa_user_sgpr_kernarg_preload_length 0
		.amdhsa_user_sgpr_kernarg_preload_offset 0
		.amdhsa_user_sgpr_private_segment_size 0
		.amdhsa_uses_dynamic_stack 0
		.amdhsa_system_sgpr_private_segment_wavefront_offset 0
		.amdhsa_system_sgpr_workgroup_id_x 1
		.amdhsa_system_sgpr_workgroup_id_y 0
		.amdhsa_system_sgpr_workgroup_id_z 0
		.amdhsa_system_sgpr_workgroup_info 0
		.amdhsa_system_vgpr_workitem_id 0
		.amdhsa_next_free_vgpr 4
		.amdhsa_next_free_sgpr 6
		.amdhsa_accum_offset 4
		.amdhsa_reserve_vcc 0
		.amdhsa_reserve_flat_scratch 0
		.amdhsa_float_round_mode_32 0
		.amdhsa_float_round_mode_16_64 0
		.amdhsa_float_denorm_mode_32 3
		.amdhsa_float_denorm_mode_16_64 3
		.amdhsa_dx10_clamp 1
		.amdhsa_ieee_mode 1
		.amdhsa_fp16_overflow 0
		.amdhsa_tg_split 0
		.amdhsa_exception_fp_ieee_invalid_op 0
		.amdhsa_exception_fp_denorm_src 0
		.amdhsa_exception_fp_ieee_div_zero 0
		.amdhsa_exception_fp_ieee_overflow 0
		.amdhsa_exception_fp_ieee_underflow 0
		.amdhsa_exception_fp_ieee_inexact 0
		.amdhsa_exception_int_div_zero 0
	.end_amdhsa_kernel
	.section	.text._Z20warp_exchange_kernelILj1024ELj1ELj64ELN6hipcub21WarpExchangeAlgorithmE1E18StripedToBlockedOpdEvPT4_S4_,"axG",@progbits,_Z20warp_exchange_kernelILj1024ELj1ELj64ELN6hipcub21WarpExchangeAlgorithmE1E18StripedToBlockedOpdEvPT4_S4_,comdat
.Lfunc_end57:
	.size	_Z20warp_exchange_kernelILj1024ELj1ELj64ELN6hipcub21WarpExchangeAlgorithmE1E18StripedToBlockedOpdEvPT4_S4_, .Lfunc_end57-_Z20warp_exchange_kernelILj1024ELj1ELj64ELN6hipcub21WarpExchangeAlgorithmE1E18StripedToBlockedOpdEvPT4_S4_
                                        ; -- End function
	.section	.AMDGPU.csdata,"",@progbits
; Kernel info:
; codeLenInByte = 80
; NumSgprs: 10
; NumVgprs: 4
; NumAgprs: 0
; TotalNumVgprs: 4
; ScratchSize: 0
; MemoryBound: 0
; FloatMode: 240
; IeeeMode: 1
; LDSByteSize: 0 bytes/workgroup (compile time only)
; SGPRBlocks: 1
; VGPRBlocks: 0
; NumSGPRsForWavesPerEU: 10
; NumVGPRsForWavesPerEU: 4
; AccumOffset: 4
; Occupancy: 8
; WaveLimiterHint : 0
; COMPUTE_PGM_RSRC2:SCRATCH_EN: 0
; COMPUTE_PGM_RSRC2:USER_SGPR: 6
; COMPUTE_PGM_RSRC2:TRAP_HANDLER: 0
; COMPUTE_PGM_RSRC2:TGID_X_EN: 1
; COMPUTE_PGM_RSRC2:TGID_Y_EN: 0
; COMPUTE_PGM_RSRC2:TGID_Z_EN: 0
; COMPUTE_PGM_RSRC2:TIDIG_COMP_CNT: 0
; COMPUTE_PGM_RSRC3_GFX90A:ACCUM_OFFSET: 0
; COMPUTE_PGM_RSRC3_GFX90A:TG_SPLIT: 0
	.section	.text._Z20warp_exchange_kernelILj1024ELj4ELj32ELN6hipcub21WarpExchangeAlgorithmE1E18StripedToBlockedOpdEvPT4_S4_,"axG",@progbits,_Z20warp_exchange_kernelILj1024ELj4ELj32ELN6hipcub21WarpExchangeAlgorithmE1E18StripedToBlockedOpdEvPT4_S4_,comdat
	.protected	_Z20warp_exchange_kernelILj1024ELj4ELj32ELN6hipcub21WarpExchangeAlgorithmE1E18StripedToBlockedOpdEvPT4_S4_ ; -- Begin function _Z20warp_exchange_kernelILj1024ELj4ELj32ELN6hipcub21WarpExchangeAlgorithmE1E18StripedToBlockedOpdEvPT4_S4_
	.globl	_Z20warp_exchange_kernelILj1024ELj4ELj32ELN6hipcub21WarpExchangeAlgorithmE1E18StripedToBlockedOpdEvPT4_S4_
	.p2align	8
	.type	_Z20warp_exchange_kernelILj1024ELj4ELj32ELN6hipcub21WarpExchangeAlgorithmE1E18StripedToBlockedOpdEvPT4_S4_,@function
_Z20warp_exchange_kernelILj1024ELj4ELj32ELN6hipcub21WarpExchangeAlgorithmE1E18StripedToBlockedOpdEvPT4_S4_: ; @_Z20warp_exchange_kernelILj1024ELj4ELj32ELN6hipcub21WarpExchangeAlgorithmE1E18StripedToBlockedOpdEvPT4_S4_
; %bb.0:
	s_load_dwordx4 s[0:3], s[4:5], 0x0
	v_lshlrev_b32_e32 v8, 5, v0
	v_mbcnt_lo_u32_b32 v9, -1, 0
	v_mbcnt_hi_u32_b32 v9, -1, v9
	v_lshlrev_b32_e32 v10, 2, v9
	s_waitcnt lgkmcnt(0)
	global_load_dwordx4 v[0:3], v8, s[0:1]
	global_load_dwordx4 v[4:7], v8, s[0:1] offset:16
	v_and_b32_e32 v11, 0x60, v9
	v_and_or_b32 v10, v10, 28, v11
	v_lshlrev_b32_e32 v10, 2, v10
	v_bfe_u32 v9, v9, 3, 2
	v_cmp_eq_u32_e32 vcc, 1, v9
	s_waitcnt vmcnt(1)
	ds_bpermute_b32 v11, v10, v0
	ds_bpermute_b32 v12, v10, v1
	;; [unrolled: 1-line block ×4, first 2 shown]
	ds_bpermute_b32 v19, v10, v0 offset:4
	ds_bpermute_b32 v20, v10, v1 offset:4
	;; [unrolled: 1-line block ×12, first 2 shown]
	s_waitcnt vmcnt(0)
	ds_bpermute_b32 v15, v10, v4
	ds_bpermute_b32 v16, v10, v5
	ds_bpermute_b32 v23, v10, v4 offset:4
	ds_bpermute_b32 v24, v10, v5 offset:4
	;; [unrolled: 1-line block ×6, first 2 shown]
	ds_bpermute_b32 v17, v10, v6
	ds_bpermute_b32 v18, v10, v7
	ds_bpermute_b32 v25, v10, v6 offset:4
	ds_bpermute_b32 v26, v10, v7 offset:4
	;; [unrolled: 1-line block ×6, first 2 shown]
	s_waitcnt lgkmcnt(14)
	v_cndmask_b32_e32 v10, v12, v14, vcc
	v_cndmask_b32_e32 v11, v11, v13, vcc
	;; [unrolled: 1-line block ×8, first 2 shown]
	v_cmp_eq_u32_e32 vcc, 2, v9
	v_cndmask_b32_e32 v2, v11, v15, vcc
	v_cndmask_b32_e32 v3, v10, v16, vcc
	s_waitcnt lgkmcnt(13)
	v_cndmask_b32_e32 v10, v13, v23, vcc
	s_waitcnt lgkmcnt(12)
	;; [unrolled: 2-line block ×6, first 2 shown]
	v_cndmask_b32_e32 v15, v1, v5, vcc
	v_cmp_eq_u32_e32 vcc, 3, v9
	s_waitcnt lgkmcnt(6)
	v_cndmask_b32_e32 v1, v3, v18, vcc
	v_cndmask_b32_e32 v0, v2, v17, vcc
	s_waitcnt lgkmcnt(4)
	v_cndmask_b32_e32 v3, v11, v26, vcc
	v_cndmask_b32_e32 v2, v10, v25, vcc
	;; [unrolled: 3-line block ×4, first 2 shown]
	global_store_dwordx4 v8, v[0:3], s[2:3]
	global_store_dwordx4 v8, v[4:7], s[2:3] offset:16
	s_endpgm
	.section	.rodata,"a",@progbits
	.p2align	6, 0x0
	.amdhsa_kernel _Z20warp_exchange_kernelILj1024ELj4ELj32ELN6hipcub21WarpExchangeAlgorithmE1E18StripedToBlockedOpdEvPT4_S4_
		.amdhsa_group_segment_fixed_size 0
		.amdhsa_private_segment_fixed_size 0
		.amdhsa_kernarg_size 16
		.amdhsa_user_sgpr_count 6
		.amdhsa_user_sgpr_private_segment_buffer 1
		.amdhsa_user_sgpr_dispatch_ptr 0
		.amdhsa_user_sgpr_queue_ptr 0
		.amdhsa_user_sgpr_kernarg_segment_ptr 1
		.amdhsa_user_sgpr_dispatch_id 0
		.amdhsa_user_sgpr_flat_scratch_init 0
		.amdhsa_user_sgpr_kernarg_preload_length 0
		.amdhsa_user_sgpr_kernarg_preload_offset 0
		.amdhsa_user_sgpr_private_segment_size 0
		.amdhsa_uses_dynamic_stack 0
		.amdhsa_system_sgpr_private_segment_wavefront_offset 0
		.amdhsa_system_sgpr_workgroup_id_x 1
		.amdhsa_system_sgpr_workgroup_id_y 0
		.amdhsa_system_sgpr_workgroup_id_z 0
		.amdhsa_system_sgpr_workgroup_info 0
		.amdhsa_system_vgpr_workitem_id 0
		.amdhsa_next_free_vgpr 35
		.amdhsa_next_free_sgpr 6
		.amdhsa_accum_offset 36
		.amdhsa_reserve_vcc 1
		.amdhsa_reserve_flat_scratch 0
		.amdhsa_float_round_mode_32 0
		.amdhsa_float_round_mode_16_64 0
		.amdhsa_float_denorm_mode_32 3
		.amdhsa_float_denorm_mode_16_64 3
		.amdhsa_dx10_clamp 1
		.amdhsa_ieee_mode 1
		.amdhsa_fp16_overflow 0
		.amdhsa_tg_split 0
		.amdhsa_exception_fp_ieee_invalid_op 0
		.amdhsa_exception_fp_denorm_src 0
		.amdhsa_exception_fp_ieee_div_zero 0
		.amdhsa_exception_fp_ieee_overflow 0
		.amdhsa_exception_fp_ieee_underflow 0
		.amdhsa_exception_fp_ieee_inexact 0
		.amdhsa_exception_int_div_zero 0
	.end_amdhsa_kernel
	.section	.text._Z20warp_exchange_kernelILj1024ELj4ELj32ELN6hipcub21WarpExchangeAlgorithmE1E18StripedToBlockedOpdEvPT4_S4_,"axG",@progbits,_Z20warp_exchange_kernelILj1024ELj4ELj32ELN6hipcub21WarpExchangeAlgorithmE1E18StripedToBlockedOpdEvPT4_S4_,comdat
.Lfunc_end58:
	.size	_Z20warp_exchange_kernelILj1024ELj4ELj32ELN6hipcub21WarpExchangeAlgorithmE1E18StripedToBlockedOpdEvPT4_S4_, .Lfunc_end58-_Z20warp_exchange_kernelILj1024ELj4ELj32ELN6hipcub21WarpExchangeAlgorithmE1E18StripedToBlockedOpdEvPT4_S4_
                                        ; -- End function
	.section	.AMDGPU.csdata,"",@progbits
; Kernel info:
; codeLenInByte = 516
; NumSgprs: 10
; NumVgprs: 35
; NumAgprs: 0
; TotalNumVgprs: 35
; ScratchSize: 0
; MemoryBound: 0
; FloatMode: 240
; IeeeMode: 1
; LDSByteSize: 0 bytes/workgroup (compile time only)
; SGPRBlocks: 1
; VGPRBlocks: 4
; NumSGPRsForWavesPerEU: 10
; NumVGPRsForWavesPerEU: 35
; AccumOffset: 36
; Occupancy: 8
; WaveLimiterHint : 0
; COMPUTE_PGM_RSRC2:SCRATCH_EN: 0
; COMPUTE_PGM_RSRC2:USER_SGPR: 6
; COMPUTE_PGM_RSRC2:TRAP_HANDLER: 0
; COMPUTE_PGM_RSRC2:TGID_X_EN: 1
; COMPUTE_PGM_RSRC2:TGID_Y_EN: 0
; COMPUTE_PGM_RSRC2:TGID_Z_EN: 0
; COMPUTE_PGM_RSRC2:TIDIG_COMP_CNT: 0
; COMPUTE_PGM_RSRC3_GFX90A:ACCUM_OFFSET: 8
; COMPUTE_PGM_RSRC3_GFX90A:TG_SPLIT: 0
	.section	.text._Z20warp_exchange_kernelILj1024ELj1ELj32ELN6hipcub21WarpExchangeAlgorithmE1E18StripedToBlockedOpdEvPT4_S4_,"axG",@progbits,_Z20warp_exchange_kernelILj1024ELj1ELj32ELN6hipcub21WarpExchangeAlgorithmE1E18StripedToBlockedOpdEvPT4_S4_,comdat
	.protected	_Z20warp_exchange_kernelILj1024ELj1ELj32ELN6hipcub21WarpExchangeAlgorithmE1E18StripedToBlockedOpdEvPT4_S4_ ; -- Begin function _Z20warp_exchange_kernelILj1024ELj1ELj32ELN6hipcub21WarpExchangeAlgorithmE1E18StripedToBlockedOpdEvPT4_S4_
	.globl	_Z20warp_exchange_kernelILj1024ELj1ELj32ELN6hipcub21WarpExchangeAlgorithmE1E18StripedToBlockedOpdEvPT4_S4_
	.p2align	8
	.type	_Z20warp_exchange_kernelILj1024ELj1ELj32ELN6hipcub21WarpExchangeAlgorithmE1E18StripedToBlockedOpdEvPT4_S4_,@function
_Z20warp_exchange_kernelILj1024ELj1ELj32ELN6hipcub21WarpExchangeAlgorithmE1E18StripedToBlockedOpdEvPT4_S4_: ; @_Z20warp_exchange_kernelILj1024ELj1ELj32ELN6hipcub21WarpExchangeAlgorithmE1E18StripedToBlockedOpdEvPT4_S4_
; %bb.0:
	s_load_dwordx4 s[0:3], s[4:5], 0x0
	v_lshlrev_b32_e32 v2, 3, v0
	v_mbcnt_lo_u32_b32 v3, -1, 0
	v_mbcnt_hi_u32_b32 v3, -1, v3
	v_lshlrev_b32_e32 v3, 2, v3
	s_waitcnt lgkmcnt(0)
	global_load_dwordx2 v[0:1], v2, s[0:1]
	s_waitcnt vmcnt(0)
	ds_bpermute_b32 v0, v3, v0
	ds_bpermute_b32 v1, v3, v1
	s_waitcnt lgkmcnt(0)
	global_store_dwordx2 v2, v[0:1], s[2:3]
	s_endpgm
	.section	.rodata,"a",@progbits
	.p2align	6, 0x0
	.amdhsa_kernel _Z20warp_exchange_kernelILj1024ELj1ELj32ELN6hipcub21WarpExchangeAlgorithmE1E18StripedToBlockedOpdEvPT4_S4_
		.amdhsa_group_segment_fixed_size 0
		.amdhsa_private_segment_fixed_size 0
		.amdhsa_kernarg_size 16
		.amdhsa_user_sgpr_count 6
		.amdhsa_user_sgpr_private_segment_buffer 1
		.amdhsa_user_sgpr_dispatch_ptr 0
		.amdhsa_user_sgpr_queue_ptr 0
		.amdhsa_user_sgpr_kernarg_segment_ptr 1
		.amdhsa_user_sgpr_dispatch_id 0
		.amdhsa_user_sgpr_flat_scratch_init 0
		.amdhsa_user_sgpr_kernarg_preload_length 0
		.amdhsa_user_sgpr_kernarg_preload_offset 0
		.amdhsa_user_sgpr_private_segment_size 0
		.amdhsa_uses_dynamic_stack 0
		.amdhsa_system_sgpr_private_segment_wavefront_offset 0
		.amdhsa_system_sgpr_workgroup_id_x 1
		.amdhsa_system_sgpr_workgroup_id_y 0
		.amdhsa_system_sgpr_workgroup_id_z 0
		.amdhsa_system_sgpr_workgroup_info 0
		.amdhsa_system_vgpr_workitem_id 0
		.amdhsa_next_free_vgpr 4
		.amdhsa_next_free_sgpr 6
		.amdhsa_accum_offset 4
		.amdhsa_reserve_vcc 0
		.amdhsa_reserve_flat_scratch 0
		.amdhsa_float_round_mode_32 0
		.amdhsa_float_round_mode_16_64 0
		.amdhsa_float_denorm_mode_32 3
		.amdhsa_float_denorm_mode_16_64 3
		.amdhsa_dx10_clamp 1
		.amdhsa_ieee_mode 1
		.amdhsa_fp16_overflow 0
		.amdhsa_tg_split 0
		.amdhsa_exception_fp_ieee_invalid_op 0
		.amdhsa_exception_fp_denorm_src 0
		.amdhsa_exception_fp_ieee_div_zero 0
		.amdhsa_exception_fp_ieee_overflow 0
		.amdhsa_exception_fp_ieee_underflow 0
		.amdhsa_exception_fp_ieee_inexact 0
		.amdhsa_exception_int_div_zero 0
	.end_amdhsa_kernel
	.section	.text._Z20warp_exchange_kernelILj1024ELj1ELj32ELN6hipcub21WarpExchangeAlgorithmE1E18StripedToBlockedOpdEvPT4_S4_,"axG",@progbits,_Z20warp_exchange_kernelILj1024ELj1ELj32ELN6hipcub21WarpExchangeAlgorithmE1E18StripedToBlockedOpdEvPT4_S4_,comdat
.Lfunc_end59:
	.size	_Z20warp_exchange_kernelILj1024ELj1ELj32ELN6hipcub21WarpExchangeAlgorithmE1E18StripedToBlockedOpdEvPT4_S4_, .Lfunc_end59-_Z20warp_exchange_kernelILj1024ELj1ELj32ELN6hipcub21WarpExchangeAlgorithmE1E18StripedToBlockedOpdEvPT4_S4_
                                        ; -- End function
	.section	.AMDGPU.csdata,"",@progbits
; Kernel info:
; codeLenInByte = 80
; NumSgprs: 10
; NumVgprs: 4
; NumAgprs: 0
; TotalNumVgprs: 4
; ScratchSize: 0
; MemoryBound: 0
; FloatMode: 240
; IeeeMode: 1
; LDSByteSize: 0 bytes/workgroup (compile time only)
; SGPRBlocks: 1
; VGPRBlocks: 0
; NumSGPRsForWavesPerEU: 10
; NumVGPRsForWavesPerEU: 4
; AccumOffset: 4
; Occupancy: 8
; WaveLimiterHint : 0
; COMPUTE_PGM_RSRC2:SCRATCH_EN: 0
; COMPUTE_PGM_RSRC2:USER_SGPR: 6
; COMPUTE_PGM_RSRC2:TRAP_HANDLER: 0
; COMPUTE_PGM_RSRC2:TGID_X_EN: 1
; COMPUTE_PGM_RSRC2:TGID_Y_EN: 0
; COMPUTE_PGM_RSRC2:TGID_Z_EN: 0
; COMPUTE_PGM_RSRC2:TIDIG_COMP_CNT: 0
; COMPUTE_PGM_RSRC3_GFX90A:ACCUM_OFFSET: 0
; COMPUTE_PGM_RSRC3_GFX90A:TG_SPLIT: 0
	.section	.text._Z20warp_exchange_kernelILj1024ELj4ELj16ELN6hipcub21WarpExchangeAlgorithmE1E18StripedToBlockedOpdEvPT4_S4_,"axG",@progbits,_Z20warp_exchange_kernelILj1024ELj4ELj16ELN6hipcub21WarpExchangeAlgorithmE1E18StripedToBlockedOpdEvPT4_S4_,comdat
	.protected	_Z20warp_exchange_kernelILj1024ELj4ELj16ELN6hipcub21WarpExchangeAlgorithmE1E18StripedToBlockedOpdEvPT4_S4_ ; -- Begin function _Z20warp_exchange_kernelILj1024ELj4ELj16ELN6hipcub21WarpExchangeAlgorithmE1E18StripedToBlockedOpdEvPT4_S4_
	.globl	_Z20warp_exchange_kernelILj1024ELj4ELj16ELN6hipcub21WarpExchangeAlgorithmE1E18StripedToBlockedOpdEvPT4_S4_
	.p2align	8
	.type	_Z20warp_exchange_kernelILj1024ELj4ELj16ELN6hipcub21WarpExchangeAlgorithmE1E18StripedToBlockedOpdEvPT4_S4_,@function
_Z20warp_exchange_kernelILj1024ELj4ELj16ELN6hipcub21WarpExchangeAlgorithmE1E18StripedToBlockedOpdEvPT4_S4_: ; @_Z20warp_exchange_kernelILj1024ELj4ELj16ELN6hipcub21WarpExchangeAlgorithmE1E18StripedToBlockedOpdEvPT4_S4_
; %bb.0:
	s_load_dwordx4 s[0:3], s[4:5], 0x0
	v_lshlrev_b32_e32 v8, 5, v0
	v_mbcnt_lo_u32_b32 v9, -1, 0
	v_mbcnt_hi_u32_b32 v9, -1, v9
	v_lshlrev_b32_e32 v10, 2, v9
	s_waitcnt lgkmcnt(0)
	global_load_dwordx4 v[0:3], v8, s[0:1]
	global_load_dwordx4 v[4:7], v8, s[0:1] offset:16
	v_and_b32_e32 v11, 0x70, v9
	v_and_or_b32 v10, v10, 12, v11
	v_lshlrev_b32_e32 v10, 2, v10
	v_bfe_u32 v9, v9, 2, 2
	v_cmp_eq_u32_e32 vcc, 1, v9
	s_waitcnt vmcnt(1)
	ds_bpermute_b32 v11, v10, v0
	ds_bpermute_b32 v12, v10, v1
	;; [unrolled: 1-line block ×4, first 2 shown]
	ds_bpermute_b32 v19, v10, v0 offset:4
	ds_bpermute_b32 v20, v10, v1 offset:4
	;; [unrolled: 1-line block ×12, first 2 shown]
	s_waitcnt vmcnt(0)
	ds_bpermute_b32 v15, v10, v4
	ds_bpermute_b32 v16, v10, v5
	ds_bpermute_b32 v23, v10, v4 offset:4
	ds_bpermute_b32 v24, v10, v5 offset:4
	;; [unrolled: 1-line block ×6, first 2 shown]
	ds_bpermute_b32 v17, v10, v6
	ds_bpermute_b32 v18, v10, v7
	ds_bpermute_b32 v25, v10, v6 offset:4
	ds_bpermute_b32 v26, v10, v7 offset:4
	;; [unrolled: 1-line block ×6, first 2 shown]
	s_waitcnt lgkmcnt(14)
	v_cndmask_b32_e32 v10, v12, v14, vcc
	v_cndmask_b32_e32 v11, v11, v13, vcc
	;; [unrolled: 1-line block ×8, first 2 shown]
	v_cmp_eq_u32_e32 vcc, 2, v9
	v_cndmask_b32_e32 v2, v11, v15, vcc
	v_cndmask_b32_e32 v3, v10, v16, vcc
	s_waitcnt lgkmcnt(13)
	v_cndmask_b32_e32 v10, v13, v23, vcc
	s_waitcnt lgkmcnt(12)
	;; [unrolled: 2-line block ×6, first 2 shown]
	v_cndmask_b32_e32 v15, v1, v5, vcc
	v_cmp_eq_u32_e32 vcc, 3, v9
	s_waitcnt lgkmcnt(6)
	v_cndmask_b32_e32 v1, v3, v18, vcc
	v_cndmask_b32_e32 v0, v2, v17, vcc
	s_waitcnt lgkmcnt(4)
	v_cndmask_b32_e32 v3, v11, v26, vcc
	v_cndmask_b32_e32 v2, v10, v25, vcc
	;; [unrolled: 3-line block ×4, first 2 shown]
	global_store_dwordx4 v8, v[0:3], s[2:3]
	global_store_dwordx4 v8, v[4:7], s[2:3] offset:16
	s_endpgm
	.section	.rodata,"a",@progbits
	.p2align	6, 0x0
	.amdhsa_kernel _Z20warp_exchange_kernelILj1024ELj4ELj16ELN6hipcub21WarpExchangeAlgorithmE1E18StripedToBlockedOpdEvPT4_S4_
		.amdhsa_group_segment_fixed_size 0
		.amdhsa_private_segment_fixed_size 0
		.amdhsa_kernarg_size 16
		.amdhsa_user_sgpr_count 6
		.amdhsa_user_sgpr_private_segment_buffer 1
		.amdhsa_user_sgpr_dispatch_ptr 0
		.amdhsa_user_sgpr_queue_ptr 0
		.amdhsa_user_sgpr_kernarg_segment_ptr 1
		.amdhsa_user_sgpr_dispatch_id 0
		.amdhsa_user_sgpr_flat_scratch_init 0
		.amdhsa_user_sgpr_kernarg_preload_length 0
		.amdhsa_user_sgpr_kernarg_preload_offset 0
		.amdhsa_user_sgpr_private_segment_size 0
		.amdhsa_uses_dynamic_stack 0
		.amdhsa_system_sgpr_private_segment_wavefront_offset 0
		.amdhsa_system_sgpr_workgroup_id_x 1
		.amdhsa_system_sgpr_workgroup_id_y 0
		.amdhsa_system_sgpr_workgroup_id_z 0
		.amdhsa_system_sgpr_workgroup_info 0
		.amdhsa_system_vgpr_workitem_id 0
		.amdhsa_next_free_vgpr 35
		.amdhsa_next_free_sgpr 6
		.amdhsa_accum_offset 36
		.amdhsa_reserve_vcc 1
		.amdhsa_reserve_flat_scratch 0
		.amdhsa_float_round_mode_32 0
		.amdhsa_float_round_mode_16_64 0
		.amdhsa_float_denorm_mode_32 3
		.amdhsa_float_denorm_mode_16_64 3
		.amdhsa_dx10_clamp 1
		.amdhsa_ieee_mode 1
		.amdhsa_fp16_overflow 0
		.amdhsa_tg_split 0
		.amdhsa_exception_fp_ieee_invalid_op 0
		.amdhsa_exception_fp_denorm_src 0
		.amdhsa_exception_fp_ieee_div_zero 0
		.amdhsa_exception_fp_ieee_overflow 0
		.amdhsa_exception_fp_ieee_underflow 0
		.amdhsa_exception_fp_ieee_inexact 0
		.amdhsa_exception_int_div_zero 0
	.end_amdhsa_kernel
	.section	.text._Z20warp_exchange_kernelILj1024ELj4ELj16ELN6hipcub21WarpExchangeAlgorithmE1E18StripedToBlockedOpdEvPT4_S4_,"axG",@progbits,_Z20warp_exchange_kernelILj1024ELj4ELj16ELN6hipcub21WarpExchangeAlgorithmE1E18StripedToBlockedOpdEvPT4_S4_,comdat
.Lfunc_end60:
	.size	_Z20warp_exchange_kernelILj1024ELj4ELj16ELN6hipcub21WarpExchangeAlgorithmE1E18StripedToBlockedOpdEvPT4_S4_, .Lfunc_end60-_Z20warp_exchange_kernelILj1024ELj4ELj16ELN6hipcub21WarpExchangeAlgorithmE1E18StripedToBlockedOpdEvPT4_S4_
                                        ; -- End function
	.section	.AMDGPU.csdata,"",@progbits
; Kernel info:
; codeLenInByte = 516
; NumSgprs: 10
; NumVgprs: 35
; NumAgprs: 0
; TotalNumVgprs: 35
; ScratchSize: 0
; MemoryBound: 0
; FloatMode: 240
; IeeeMode: 1
; LDSByteSize: 0 bytes/workgroup (compile time only)
; SGPRBlocks: 1
; VGPRBlocks: 4
; NumSGPRsForWavesPerEU: 10
; NumVGPRsForWavesPerEU: 35
; AccumOffset: 36
; Occupancy: 8
; WaveLimiterHint : 0
; COMPUTE_PGM_RSRC2:SCRATCH_EN: 0
; COMPUTE_PGM_RSRC2:USER_SGPR: 6
; COMPUTE_PGM_RSRC2:TRAP_HANDLER: 0
; COMPUTE_PGM_RSRC2:TGID_X_EN: 1
; COMPUTE_PGM_RSRC2:TGID_Y_EN: 0
; COMPUTE_PGM_RSRC2:TGID_Z_EN: 0
; COMPUTE_PGM_RSRC2:TIDIG_COMP_CNT: 0
; COMPUTE_PGM_RSRC3_GFX90A:ACCUM_OFFSET: 8
; COMPUTE_PGM_RSRC3_GFX90A:TG_SPLIT: 0
	.section	.text._Z20warp_exchange_kernelILj1024ELj1ELj16ELN6hipcub21WarpExchangeAlgorithmE1E18StripedToBlockedOpdEvPT4_S4_,"axG",@progbits,_Z20warp_exchange_kernelILj1024ELj1ELj16ELN6hipcub21WarpExchangeAlgorithmE1E18StripedToBlockedOpdEvPT4_S4_,comdat
	.protected	_Z20warp_exchange_kernelILj1024ELj1ELj16ELN6hipcub21WarpExchangeAlgorithmE1E18StripedToBlockedOpdEvPT4_S4_ ; -- Begin function _Z20warp_exchange_kernelILj1024ELj1ELj16ELN6hipcub21WarpExchangeAlgorithmE1E18StripedToBlockedOpdEvPT4_S4_
	.globl	_Z20warp_exchange_kernelILj1024ELj1ELj16ELN6hipcub21WarpExchangeAlgorithmE1E18StripedToBlockedOpdEvPT4_S4_
	.p2align	8
	.type	_Z20warp_exchange_kernelILj1024ELj1ELj16ELN6hipcub21WarpExchangeAlgorithmE1E18StripedToBlockedOpdEvPT4_S4_,@function
_Z20warp_exchange_kernelILj1024ELj1ELj16ELN6hipcub21WarpExchangeAlgorithmE1E18StripedToBlockedOpdEvPT4_S4_: ; @_Z20warp_exchange_kernelILj1024ELj1ELj16ELN6hipcub21WarpExchangeAlgorithmE1E18StripedToBlockedOpdEvPT4_S4_
; %bb.0:
	s_load_dwordx4 s[0:3], s[4:5], 0x0
	v_lshlrev_b32_e32 v2, 3, v0
	v_mbcnt_lo_u32_b32 v3, -1, 0
	v_mbcnt_hi_u32_b32 v3, -1, v3
	v_lshlrev_b32_e32 v3, 2, v3
	s_waitcnt lgkmcnt(0)
	global_load_dwordx2 v[0:1], v2, s[0:1]
	s_waitcnt vmcnt(0)
	ds_bpermute_b32 v0, v3, v0
	ds_bpermute_b32 v1, v3, v1
	s_waitcnt lgkmcnt(0)
	global_store_dwordx2 v2, v[0:1], s[2:3]
	s_endpgm
	.section	.rodata,"a",@progbits
	.p2align	6, 0x0
	.amdhsa_kernel _Z20warp_exchange_kernelILj1024ELj1ELj16ELN6hipcub21WarpExchangeAlgorithmE1E18StripedToBlockedOpdEvPT4_S4_
		.amdhsa_group_segment_fixed_size 0
		.amdhsa_private_segment_fixed_size 0
		.amdhsa_kernarg_size 16
		.amdhsa_user_sgpr_count 6
		.amdhsa_user_sgpr_private_segment_buffer 1
		.amdhsa_user_sgpr_dispatch_ptr 0
		.amdhsa_user_sgpr_queue_ptr 0
		.amdhsa_user_sgpr_kernarg_segment_ptr 1
		.amdhsa_user_sgpr_dispatch_id 0
		.amdhsa_user_sgpr_flat_scratch_init 0
		.amdhsa_user_sgpr_kernarg_preload_length 0
		.amdhsa_user_sgpr_kernarg_preload_offset 0
		.amdhsa_user_sgpr_private_segment_size 0
		.amdhsa_uses_dynamic_stack 0
		.amdhsa_system_sgpr_private_segment_wavefront_offset 0
		.amdhsa_system_sgpr_workgroup_id_x 1
		.amdhsa_system_sgpr_workgroup_id_y 0
		.amdhsa_system_sgpr_workgroup_id_z 0
		.amdhsa_system_sgpr_workgroup_info 0
		.amdhsa_system_vgpr_workitem_id 0
		.amdhsa_next_free_vgpr 4
		.amdhsa_next_free_sgpr 6
		.amdhsa_accum_offset 4
		.amdhsa_reserve_vcc 0
		.amdhsa_reserve_flat_scratch 0
		.amdhsa_float_round_mode_32 0
		.amdhsa_float_round_mode_16_64 0
		.amdhsa_float_denorm_mode_32 3
		.amdhsa_float_denorm_mode_16_64 3
		.amdhsa_dx10_clamp 1
		.amdhsa_ieee_mode 1
		.amdhsa_fp16_overflow 0
		.amdhsa_tg_split 0
		.amdhsa_exception_fp_ieee_invalid_op 0
		.amdhsa_exception_fp_denorm_src 0
		.amdhsa_exception_fp_ieee_div_zero 0
		.amdhsa_exception_fp_ieee_overflow 0
		.amdhsa_exception_fp_ieee_underflow 0
		.amdhsa_exception_fp_ieee_inexact 0
		.amdhsa_exception_int_div_zero 0
	.end_amdhsa_kernel
	.section	.text._Z20warp_exchange_kernelILj1024ELj1ELj16ELN6hipcub21WarpExchangeAlgorithmE1E18StripedToBlockedOpdEvPT4_S4_,"axG",@progbits,_Z20warp_exchange_kernelILj1024ELj1ELj16ELN6hipcub21WarpExchangeAlgorithmE1E18StripedToBlockedOpdEvPT4_S4_,comdat
.Lfunc_end61:
	.size	_Z20warp_exchange_kernelILj1024ELj1ELj16ELN6hipcub21WarpExchangeAlgorithmE1E18StripedToBlockedOpdEvPT4_S4_, .Lfunc_end61-_Z20warp_exchange_kernelILj1024ELj1ELj16ELN6hipcub21WarpExchangeAlgorithmE1E18StripedToBlockedOpdEvPT4_S4_
                                        ; -- End function
	.section	.AMDGPU.csdata,"",@progbits
; Kernel info:
; codeLenInByte = 80
; NumSgprs: 10
; NumVgprs: 4
; NumAgprs: 0
; TotalNumVgprs: 4
; ScratchSize: 0
; MemoryBound: 0
; FloatMode: 240
; IeeeMode: 1
; LDSByteSize: 0 bytes/workgroup (compile time only)
; SGPRBlocks: 1
; VGPRBlocks: 0
; NumSGPRsForWavesPerEU: 10
; NumVGPRsForWavesPerEU: 4
; AccumOffset: 4
; Occupancy: 8
; WaveLimiterHint : 0
; COMPUTE_PGM_RSRC2:SCRATCH_EN: 0
; COMPUTE_PGM_RSRC2:USER_SGPR: 6
; COMPUTE_PGM_RSRC2:TRAP_HANDLER: 0
; COMPUTE_PGM_RSRC2:TGID_X_EN: 1
; COMPUTE_PGM_RSRC2:TGID_Y_EN: 0
; COMPUTE_PGM_RSRC2:TGID_Z_EN: 0
; COMPUTE_PGM_RSRC2:TIDIG_COMP_CNT: 0
; COMPUTE_PGM_RSRC3_GFX90A:ACCUM_OFFSET: 0
; COMPUTE_PGM_RSRC3_GFX90A:TG_SPLIT: 0
	.section	.text._Z20warp_exchange_kernelILj1024ELj4ELj8ELN6hipcub21WarpExchangeAlgorithmE1E18StripedToBlockedOpdEvPT4_S4_,"axG",@progbits,_Z20warp_exchange_kernelILj1024ELj4ELj8ELN6hipcub21WarpExchangeAlgorithmE1E18StripedToBlockedOpdEvPT4_S4_,comdat
	.protected	_Z20warp_exchange_kernelILj1024ELj4ELj8ELN6hipcub21WarpExchangeAlgorithmE1E18StripedToBlockedOpdEvPT4_S4_ ; -- Begin function _Z20warp_exchange_kernelILj1024ELj4ELj8ELN6hipcub21WarpExchangeAlgorithmE1E18StripedToBlockedOpdEvPT4_S4_
	.globl	_Z20warp_exchange_kernelILj1024ELj4ELj8ELN6hipcub21WarpExchangeAlgorithmE1E18StripedToBlockedOpdEvPT4_S4_
	.p2align	8
	.type	_Z20warp_exchange_kernelILj1024ELj4ELj8ELN6hipcub21WarpExchangeAlgorithmE1E18StripedToBlockedOpdEvPT4_S4_,@function
_Z20warp_exchange_kernelILj1024ELj4ELj8ELN6hipcub21WarpExchangeAlgorithmE1E18StripedToBlockedOpdEvPT4_S4_: ; @_Z20warp_exchange_kernelILj1024ELj4ELj8ELN6hipcub21WarpExchangeAlgorithmE1E18StripedToBlockedOpdEvPT4_S4_
; %bb.0:
	s_load_dwordx4 s[0:3], s[4:5], 0x0
	v_lshlrev_b32_e32 v8, 5, v0
	v_mbcnt_lo_u32_b32 v9, -1, 0
	v_mbcnt_hi_u32_b32 v9, -1, v9
	v_lshlrev_b32_e32 v10, 2, v9
	s_waitcnt lgkmcnt(0)
	global_load_dwordx4 v[0:3], v8, s[0:1]
	global_load_dwordx4 v[4:7], v8, s[0:1] offset:16
	v_and_b32_e32 v11, 0x78, v9
	v_and_or_b32 v10, v10, 4, v11
	v_lshlrev_b32_e32 v10, 2, v10
	v_bfe_u32 v9, v9, 1, 2
	v_cmp_eq_u32_e32 vcc, 1, v9
	s_waitcnt vmcnt(1)
	ds_bpermute_b32 v11, v10, v0
	ds_bpermute_b32 v12, v10, v1
	;; [unrolled: 1-line block ×4, first 2 shown]
	ds_bpermute_b32 v19, v10, v0 offset:4
	ds_bpermute_b32 v20, v10, v1 offset:4
	;; [unrolled: 1-line block ×12, first 2 shown]
	s_waitcnt vmcnt(0)
	ds_bpermute_b32 v15, v10, v4
	ds_bpermute_b32 v16, v10, v5
	ds_bpermute_b32 v23, v10, v4 offset:4
	ds_bpermute_b32 v24, v10, v5 offset:4
	;; [unrolled: 1-line block ×6, first 2 shown]
	ds_bpermute_b32 v17, v10, v6
	ds_bpermute_b32 v18, v10, v7
	ds_bpermute_b32 v25, v10, v6 offset:4
	ds_bpermute_b32 v26, v10, v7 offset:4
	;; [unrolled: 1-line block ×6, first 2 shown]
	s_waitcnt lgkmcnt(14)
	v_cndmask_b32_e32 v10, v12, v14, vcc
	v_cndmask_b32_e32 v11, v11, v13, vcc
	;; [unrolled: 1-line block ×8, first 2 shown]
	v_cmp_eq_u32_e32 vcc, 2, v9
	v_cndmask_b32_e32 v2, v11, v15, vcc
	v_cndmask_b32_e32 v3, v10, v16, vcc
	s_waitcnt lgkmcnt(13)
	v_cndmask_b32_e32 v10, v13, v23, vcc
	s_waitcnt lgkmcnt(12)
	;; [unrolled: 2-line block ×6, first 2 shown]
	v_cndmask_b32_e32 v15, v1, v5, vcc
	v_cmp_eq_u32_e32 vcc, 3, v9
	s_waitcnt lgkmcnt(6)
	v_cndmask_b32_e32 v1, v3, v18, vcc
	v_cndmask_b32_e32 v0, v2, v17, vcc
	s_waitcnt lgkmcnt(4)
	v_cndmask_b32_e32 v3, v11, v26, vcc
	v_cndmask_b32_e32 v2, v10, v25, vcc
	;; [unrolled: 3-line block ×4, first 2 shown]
	global_store_dwordx4 v8, v[0:3], s[2:3]
	global_store_dwordx4 v8, v[4:7], s[2:3] offset:16
	s_endpgm
	.section	.rodata,"a",@progbits
	.p2align	6, 0x0
	.amdhsa_kernel _Z20warp_exchange_kernelILj1024ELj4ELj8ELN6hipcub21WarpExchangeAlgorithmE1E18StripedToBlockedOpdEvPT4_S4_
		.amdhsa_group_segment_fixed_size 0
		.amdhsa_private_segment_fixed_size 0
		.amdhsa_kernarg_size 16
		.amdhsa_user_sgpr_count 6
		.amdhsa_user_sgpr_private_segment_buffer 1
		.amdhsa_user_sgpr_dispatch_ptr 0
		.amdhsa_user_sgpr_queue_ptr 0
		.amdhsa_user_sgpr_kernarg_segment_ptr 1
		.amdhsa_user_sgpr_dispatch_id 0
		.amdhsa_user_sgpr_flat_scratch_init 0
		.amdhsa_user_sgpr_kernarg_preload_length 0
		.amdhsa_user_sgpr_kernarg_preload_offset 0
		.amdhsa_user_sgpr_private_segment_size 0
		.amdhsa_uses_dynamic_stack 0
		.amdhsa_system_sgpr_private_segment_wavefront_offset 0
		.amdhsa_system_sgpr_workgroup_id_x 1
		.amdhsa_system_sgpr_workgroup_id_y 0
		.amdhsa_system_sgpr_workgroup_id_z 0
		.amdhsa_system_sgpr_workgroup_info 0
		.amdhsa_system_vgpr_workitem_id 0
		.amdhsa_next_free_vgpr 35
		.amdhsa_next_free_sgpr 6
		.amdhsa_accum_offset 36
		.amdhsa_reserve_vcc 1
		.amdhsa_reserve_flat_scratch 0
		.amdhsa_float_round_mode_32 0
		.amdhsa_float_round_mode_16_64 0
		.amdhsa_float_denorm_mode_32 3
		.amdhsa_float_denorm_mode_16_64 3
		.amdhsa_dx10_clamp 1
		.amdhsa_ieee_mode 1
		.amdhsa_fp16_overflow 0
		.amdhsa_tg_split 0
		.amdhsa_exception_fp_ieee_invalid_op 0
		.amdhsa_exception_fp_denorm_src 0
		.amdhsa_exception_fp_ieee_div_zero 0
		.amdhsa_exception_fp_ieee_overflow 0
		.amdhsa_exception_fp_ieee_underflow 0
		.amdhsa_exception_fp_ieee_inexact 0
		.amdhsa_exception_int_div_zero 0
	.end_amdhsa_kernel
	.section	.text._Z20warp_exchange_kernelILj1024ELj4ELj8ELN6hipcub21WarpExchangeAlgorithmE1E18StripedToBlockedOpdEvPT4_S4_,"axG",@progbits,_Z20warp_exchange_kernelILj1024ELj4ELj8ELN6hipcub21WarpExchangeAlgorithmE1E18StripedToBlockedOpdEvPT4_S4_,comdat
.Lfunc_end62:
	.size	_Z20warp_exchange_kernelILj1024ELj4ELj8ELN6hipcub21WarpExchangeAlgorithmE1E18StripedToBlockedOpdEvPT4_S4_, .Lfunc_end62-_Z20warp_exchange_kernelILj1024ELj4ELj8ELN6hipcub21WarpExchangeAlgorithmE1E18StripedToBlockedOpdEvPT4_S4_
                                        ; -- End function
	.section	.AMDGPU.csdata,"",@progbits
; Kernel info:
; codeLenInByte = 516
; NumSgprs: 10
; NumVgprs: 35
; NumAgprs: 0
; TotalNumVgprs: 35
; ScratchSize: 0
; MemoryBound: 0
; FloatMode: 240
; IeeeMode: 1
; LDSByteSize: 0 bytes/workgroup (compile time only)
; SGPRBlocks: 1
; VGPRBlocks: 4
; NumSGPRsForWavesPerEU: 10
; NumVGPRsForWavesPerEU: 35
; AccumOffset: 36
; Occupancy: 8
; WaveLimiterHint : 0
; COMPUTE_PGM_RSRC2:SCRATCH_EN: 0
; COMPUTE_PGM_RSRC2:USER_SGPR: 6
; COMPUTE_PGM_RSRC2:TRAP_HANDLER: 0
; COMPUTE_PGM_RSRC2:TGID_X_EN: 1
; COMPUTE_PGM_RSRC2:TGID_Y_EN: 0
; COMPUTE_PGM_RSRC2:TGID_Z_EN: 0
; COMPUTE_PGM_RSRC2:TIDIG_COMP_CNT: 0
; COMPUTE_PGM_RSRC3_GFX90A:ACCUM_OFFSET: 8
; COMPUTE_PGM_RSRC3_GFX90A:TG_SPLIT: 0
	.section	.text._Z20warp_exchange_kernelILj1024ELj1ELj8ELN6hipcub21WarpExchangeAlgorithmE1E18StripedToBlockedOpdEvPT4_S4_,"axG",@progbits,_Z20warp_exchange_kernelILj1024ELj1ELj8ELN6hipcub21WarpExchangeAlgorithmE1E18StripedToBlockedOpdEvPT4_S4_,comdat
	.protected	_Z20warp_exchange_kernelILj1024ELj1ELj8ELN6hipcub21WarpExchangeAlgorithmE1E18StripedToBlockedOpdEvPT4_S4_ ; -- Begin function _Z20warp_exchange_kernelILj1024ELj1ELj8ELN6hipcub21WarpExchangeAlgorithmE1E18StripedToBlockedOpdEvPT4_S4_
	.globl	_Z20warp_exchange_kernelILj1024ELj1ELj8ELN6hipcub21WarpExchangeAlgorithmE1E18StripedToBlockedOpdEvPT4_S4_
	.p2align	8
	.type	_Z20warp_exchange_kernelILj1024ELj1ELj8ELN6hipcub21WarpExchangeAlgorithmE1E18StripedToBlockedOpdEvPT4_S4_,@function
_Z20warp_exchange_kernelILj1024ELj1ELj8ELN6hipcub21WarpExchangeAlgorithmE1E18StripedToBlockedOpdEvPT4_S4_: ; @_Z20warp_exchange_kernelILj1024ELj1ELj8ELN6hipcub21WarpExchangeAlgorithmE1E18StripedToBlockedOpdEvPT4_S4_
; %bb.0:
	s_load_dwordx4 s[0:3], s[4:5], 0x0
	v_lshlrev_b32_e32 v2, 3, v0
	v_mbcnt_lo_u32_b32 v3, -1, 0
	v_mbcnt_hi_u32_b32 v3, -1, v3
	v_lshlrev_b32_e32 v3, 2, v3
	s_waitcnt lgkmcnt(0)
	global_load_dwordx2 v[0:1], v2, s[0:1]
	s_waitcnt vmcnt(0)
	ds_bpermute_b32 v0, v3, v0
	ds_bpermute_b32 v1, v3, v1
	s_waitcnt lgkmcnt(0)
	global_store_dwordx2 v2, v[0:1], s[2:3]
	s_endpgm
	.section	.rodata,"a",@progbits
	.p2align	6, 0x0
	.amdhsa_kernel _Z20warp_exchange_kernelILj1024ELj1ELj8ELN6hipcub21WarpExchangeAlgorithmE1E18StripedToBlockedOpdEvPT4_S4_
		.amdhsa_group_segment_fixed_size 0
		.amdhsa_private_segment_fixed_size 0
		.amdhsa_kernarg_size 16
		.amdhsa_user_sgpr_count 6
		.amdhsa_user_sgpr_private_segment_buffer 1
		.amdhsa_user_sgpr_dispatch_ptr 0
		.amdhsa_user_sgpr_queue_ptr 0
		.amdhsa_user_sgpr_kernarg_segment_ptr 1
		.amdhsa_user_sgpr_dispatch_id 0
		.amdhsa_user_sgpr_flat_scratch_init 0
		.amdhsa_user_sgpr_kernarg_preload_length 0
		.amdhsa_user_sgpr_kernarg_preload_offset 0
		.amdhsa_user_sgpr_private_segment_size 0
		.amdhsa_uses_dynamic_stack 0
		.amdhsa_system_sgpr_private_segment_wavefront_offset 0
		.amdhsa_system_sgpr_workgroup_id_x 1
		.amdhsa_system_sgpr_workgroup_id_y 0
		.amdhsa_system_sgpr_workgroup_id_z 0
		.amdhsa_system_sgpr_workgroup_info 0
		.amdhsa_system_vgpr_workitem_id 0
		.amdhsa_next_free_vgpr 4
		.amdhsa_next_free_sgpr 6
		.amdhsa_accum_offset 4
		.amdhsa_reserve_vcc 0
		.amdhsa_reserve_flat_scratch 0
		.amdhsa_float_round_mode_32 0
		.amdhsa_float_round_mode_16_64 0
		.amdhsa_float_denorm_mode_32 3
		.amdhsa_float_denorm_mode_16_64 3
		.amdhsa_dx10_clamp 1
		.amdhsa_ieee_mode 1
		.amdhsa_fp16_overflow 0
		.amdhsa_tg_split 0
		.amdhsa_exception_fp_ieee_invalid_op 0
		.amdhsa_exception_fp_denorm_src 0
		.amdhsa_exception_fp_ieee_div_zero 0
		.amdhsa_exception_fp_ieee_overflow 0
		.amdhsa_exception_fp_ieee_underflow 0
		.amdhsa_exception_fp_ieee_inexact 0
		.amdhsa_exception_int_div_zero 0
	.end_amdhsa_kernel
	.section	.text._Z20warp_exchange_kernelILj1024ELj1ELj8ELN6hipcub21WarpExchangeAlgorithmE1E18StripedToBlockedOpdEvPT4_S4_,"axG",@progbits,_Z20warp_exchange_kernelILj1024ELj1ELj8ELN6hipcub21WarpExchangeAlgorithmE1E18StripedToBlockedOpdEvPT4_S4_,comdat
.Lfunc_end63:
	.size	_Z20warp_exchange_kernelILj1024ELj1ELj8ELN6hipcub21WarpExchangeAlgorithmE1E18StripedToBlockedOpdEvPT4_S4_, .Lfunc_end63-_Z20warp_exchange_kernelILj1024ELj1ELj8ELN6hipcub21WarpExchangeAlgorithmE1E18StripedToBlockedOpdEvPT4_S4_
                                        ; -- End function
	.section	.AMDGPU.csdata,"",@progbits
; Kernel info:
; codeLenInByte = 80
; NumSgprs: 10
; NumVgprs: 4
; NumAgprs: 0
; TotalNumVgprs: 4
; ScratchSize: 0
; MemoryBound: 0
; FloatMode: 240
; IeeeMode: 1
; LDSByteSize: 0 bytes/workgroup (compile time only)
; SGPRBlocks: 1
; VGPRBlocks: 0
; NumSGPRsForWavesPerEU: 10
; NumVGPRsForWavesPerEU: 4
; AccumOffset: 4
; Occupancy: 8
; WaveLimiterHint : 0
; COMPUTE_PGM_RSRC2:SCRATCH_EN: 0
; COMPUTE_PGM_RSRC2:USER_SGPR: 6
; COMPUTE_PGM_RSRC2:TRAP_HANDLER: 0
; COMPUTE_PGM_RSRC2:TGID_X_EN: 1
; COMPUTE_PGM_RSRC2:TGID_Y_EN: 0
; COMPUTE_PGM_RSRC2:TGID_Z_EN: 0
; COMPUTE_PGM_RSRC2:TIDIG_COMP_CNT: 0
; COMPUTE_PGM_RSRC3_GFX90A:ACCUM_OFFSET: 0
; COMPUTE_PGM_RSRC3_GFX90A:TG_SPLIT: 0
	.section	.text._Z20warp_exchange_kernelILj1024ELj4ELj64ELN6hipcub21WarpExchangeAlgorithmE1E18StripedToBlockedOpiEvPT4_S4_,"axG",@progbits,_Z20warp_exchange_kernelILj1024ELj4ELj64ELN6hipcub21WarpExchangeAlgorithmE1E18StripedToBlockedOpiEvPT4_S4_,comdat
	.protected	_Z20warp_exchange_kernelILj1024ELj4ELj64ELN6hipcub21WarpExchangeAlgorithmE1E18StripedToBlockedOpiEvPT4_S4_ ; -- Begin function _Z20warp_exchange_kernelILj1024ELj4ELj64ELN6hipcub21WarpExchangeAlgorithmE1E18StripedToBlockedOpiEvPT4_S4_
	.globl	_Z20warp_exchange_kernelILj1024ELj4ELj64ELN6hipcub21WarpExchangeAlgorithmE1E18StripedToBlockedOpiEvPT4_S4_
	.p2align	8
	.type	_Z20warp_exchange_kernelILj1024ELj4ELj64ELN6hipcub21WarpExchangeAlgorithmE1E18StripedToBlockedOpiEvPT4_S4_,@function
_Z20warp_exchange_kernelILj1024ELj4ELj64ELN6hipcub21WarpExchangeAlgorithmE1E18StripedToBlockedOpiEvPT4_S4_: ; @_Z20warp_exchange_kernelILj1024ELj4ELj64ELN6hipcub21WarpExchangeAlgorithmE1E18StripedToBlockedOpiEvPT4_S4_
; %bb.0:
	s_load_dwordx4 s[0:3], s[4:5], 0x0
	v_lshlrev_b32_e32 v4, 4, v0
	v_mbcnt_lo_u32_b32 v5, -1, 0
	v_mbcnt_hi_u32_b32 v5, -1, v5
	v_lshlrev_b32_e32 v6, 2, v5
	s_waitcnt lgkmcnt(0)
	global_load_dwordx4 v[0:3], v4, s[0:1]
	v_and_b32_e32 v7, 64, v5
	v_and_or_b32 v6, v6, 60, v7
	v_lshlrev_b32_e32 v6, 2, v6
	v_lshrrev_b32_e32 v5, 4, v5
	v_cmp_eq_u32_e32 vcc, 1, v5
	s_waitcnt vmcnt(0)
	ds_bpermute_b32 v7, v6, v0
	ds_bpermute_b32 v8, v6, v1
	ds_bpermute_b32 v11, v6, v0 offset:4
	ds_bpermute_b32 v12, v6, v1 offset:4
	;; [unrolled: 1-line block ×6, first 2 shown]
	ds_bpermute_b32 v9, v6, v2
	ds_bpermute_b32 v13, v6, v2 offset:4
	ds_bpermute_b32 v17, v6, v2 offset:8
	;; [unrolled: 1-line block ×3, first 2 shown]
	ds_bpermute_b32 v10, v6, v3
	ds_bpermute_b32 v14, v6, v3 offset:4
	ds_bpermute_b32 v18, v6, v3 offset:8
	;; [unrolled: 1-line block ×3, first 2 shown]
	s_waitcnt lgkmcnt(14)
	v_cndmask_b32_e32 v6, v7, v8, vcc
	s_waitcnt lgkmcnt(12)
	v_cndmask_b32_e32 v7, v11, v12, vcc
	;; [unrolled: 2-line block ×4, first 2 shown]
	v_cmp_eq_u32_e32 vcc, 2, v5
	s_waitcnt lgkmcnt(7)
	v_cndmask_b32_e32 v1, v6, v9, vcc
	s_waitcnt lgkmcnt(6)
	v_cndmask_b32_e32 v6, v7, v13, vcc
	;; [unrolled: 2-line block ×4, first 2 shown]
	v_cmp_eq_u32_e32 vcc, 3, v5
	s_waitcnt lgkmcnt(3)
	v_cndmask_b32_e32 v0, v1, v10, vcc
	s_waitcnt lgkmcnt(2)
	v_cndmask_b32_e32 v1, v6, v14, vcc
	;; [unrolled: 2-line block ×4, first 2 shown]
	global_store_dwordx4 v4, v[0:3], s[2:3]
	s_endpgm
	.section	.rodata,"a",@progbits
	.p2align	6, 0x0
	.amdhsa_kernel _Z20warp_exchange_kernelILj1024ELj4ELj64ELN6hipcub21WarpExchangeAlgorithmE1E18StripedToBlockedOpiEvPT4_S4_
		.amdhsa_group_segment_fixed_size 0
		.amdhsa_private_segment_fixed_size 0
		.amdhsa_kernarg_size 16
		.amdhsa_user_sgpr_count 6
		.amdhsa_user_sgpr_private_segment_buffer 1
		.amdhsa_user_sgpr_dispatch_ptr 0
		.amdhsa_user_sgpr_queue_ptr 0
		.amdhsa_user_sgpr_kernarg_segment_ptr 1
		.amdhsa_user_sgpr_dispatch_id 0
		.amdhsa_user_sgpr_flat_scratch_init 0
		.amdhsa_user_sgpr_kernarg_preload_length 0
		.amdhsa_user_sgpr_kernarg_preload_offset 0
		.amdhsa_user_sgpr_private_segment_size 0
		.amdhsa_uses_dynamic_stack 0
		.amdhsa_system_sgpr_private_segment_wavefront_offset 0
		.amdhsa_system_sgpr_workgroup_id_x 1
		.amdhsa_system_sgpr_workgroup_id_y 0
		.amdhsa_system_sgpr_workgroup_id_z 0
		.amdhsa_system_sgpr_workgroup_info 0
		.amdhsa_system_vgpr_workitem_id 0
		.amdhsa_next_free_vgpr 19
		.amdhsa_next_free_sgpr 6
		.amdhsa_accum_offset 20
		.amdhsa_reserve_vcc 1
		.amdhsa_reserve_flat_scratch 0
		.amdhsa_float_round_mode_32 0
		.amdhsa_float_round_mode_16_64 0
		.amdhsa_float_denorm_mode_32 3
		.amdhsa_float_denorm_mode_16_64 3
		.amdhsa_dx10_clamp 1
		.amdhsa_ieee_mode 1
		.amdhsa_fp16_overflow 0
		.amdhsa_tg_split 0
		.amdhsa_exception_fp_ieee_invalid_op 0
		.amdhsa_exception_fp_denorm_src 0
		.amdhsa_exception_fp_ieee_div_zero 0
		.amdhsa_exception_fp_ieee_overflow 0
		.amdhsa_exception_fp_ieee_underflow 0
		.amdhsa_exception_fp_ieee_inexact 0
		.amdhsa_exception_int_div_zero 0
	.end_amdhsa_kernel
	.section	.text._Z20warp_exchange_kernelILj1024ELj4ELj64ELN6hipcub21WarpExchangeAlgorithmE1E18StripedToBlockedOpiEvPT4_S4_,"axG",@progbits,_Z20warp_exchange_kernelILj1024ELj4ELj64ELN6hipcub21WarpExchangeAlgorithmE1E18StripedToBlockedOpiEvPT4_S4_,comdat
.Lfunc_end64:
	.size	_Z20warp_exchange_kernelILj1024ELj4ELj64ELN6hipcub21WarpExchangeAlgorithmE1E18StripedToBlockedOpiEvPT4_S4_, .Lfunc_end64-_Z20warp_exchange_kernelILj1024ELj4ELj64ELN6hipcub21WarpExchangeAlgorithmE1E18StripedToBlockedOpiEvPT4_S4_
                                        ; -- End function
	.section	.AMDGPU.csdata,"",@progbits
; Kernel info:
; codeLenInByte = 316
; NumSgprs: 10
; NumVgprs: 19
; NumAgprs: 0
; TotalNumVgprs: 19
; ScratchSize: 0
; MemoryBound: 0
; FloatMode: 240
; IeeeMode: 1
; LDSByteSize: 0 bytes/workgroup (compile time only)
; SGPRBlocks: 1
; VGPRBlocks: 2
; NumSGPRsForWavesPerEU: 10
; NumVGPRsForWavesPerEU: 19
; AccumOffset: 20
; Occupancy: 8
; WaveLimiterHint : 0
; COMPUTE_PGM_RSRC2:SCRATCH_EN: 0
; COMPUTE_PGM_RSRC2:USER_SGPR: 6
; COMPUTE_PGM_RSRC2:TRAP_HANDLER: 0
; COMPUTE_PGM_RSRC2:TGID_X_EN: 1
; COMPUTE_PGM_RSRC2:TGID_Y_EN: 0
; COMPUTE_PGM_RSRC2:TGID_Z_EN: 0
; COMPUTE_PGM_RSRC2:TIDIG_COMP_CNT: 0
; COMPUTE_PGM_RSRC3_GFX90A:ACCUM_OFFSET: 4
; COMPUTE_PGM_RSRC3_GFX90A:TG_SPLIT: 0
	.section	.text._Z20warp_exchange_kernelILj1024ELj1ELj64ELN6hipcub21WarpExchangeAlgorithmE1E18StripedToBlockedOpiEvPT4_S4_,"axG",@progbits,_Z20warp_exchange_kernelILj1024ELj1ELj64ELN6hipcub21WarpExchangeAlgorithmE1E18StripedToBlockedOpiEvPT4_S4_,comdat
	.protected	_Z20warp_exchange_kernelILj1024ELj1ELj64ELN6hipcub21WarpExchangeAlgorithmE1E18StripedToBlockedOpiEvPT4_S4_ ; -- Begin function _Z20warp_exchange_kernelILj1024ELj1ELj64ELN6hipcub21WarpExchangeAlgorithmE1E18StripedToBlockedOpiEvPT4_S4_
	.globl	_Z20warp_exchange_kernelILj1024ELj1ELj64ELN6hipcub21WarpExchangeAlgorithmE1E18StripedToBlockedOpiEvPT4_S4_
	.p2align	8
	.type	_Z20warp_exchange_kernelILj1024ELj1ELj64ELN6hipcub21WarpExchangeAlgorithmE1E18StripedToBlockedOpiEvPT4_S4_,@function
_Z20warp_exchange_kernelILj1024ELj1ELj64ELN6hipcub21WarpExchangeAlgorithmE1E18StripedToBlockedOpiEvPT4_S4_: ; @_Z20warp_exchange_kernelILj1024ELj1ELj64ELN6hipcub21WarpExchangeAlgorithmE1E18StripedToBlockedOpiEvPT4_S4_
; %bb.0:
	s_load_dwordx4 s[0:3], s[4:5], 0x0
	v_lshlrev_b32_e32 v0, 2, v0
	v_mbcnt_lo_u32_b32 v2, -1, 0
	v_mbcnt_hi_u32_b32 v2, -1, v2
	v_lshlrev_b32_e32 v2, 2, v2
	s_waitcnt lgkmcnt(0)
	global_load_dword v1, v0, s[0:1]
	s_waitcnt vmcnt(0)
	ds_bpermute_b32 v1, v2, v1
	s_waitcnt lgkmcnt(0)
	global_store_dword v0, v1, s[2:3]
	s_endpgm
	.section	.rodata,"a",@progbits
	.p2align	6, 0x0
	.amdhsa_kernel _Z20warp_exchange_kernelILj1024ELj1ELj64ELN6hipcub21WarpExchangeAlgorithmE1E18StripedToBlockedOpiEvPT4_S4_
		.amdhsa_group_segment_fixed_size 0
		.amdhsa_private_segment_fixed_size 0
		.amdhsa_kernarg_size 16
		.amdhsa_user_sgpr_count 6
		.amdhsa_user_sgpr_private_segment_buffer 1
		.amdhsa_user_sgpr_dispatch_ptr 0
		.amdhsa_user_sgpr_queue_ptr 0
		.amdhsa_user_sgpr_kernarg_segment_ptr 1
		.amdhsa_user_sgpr_dispatch_id 0
		.amdhsa_user_sgpr_flat_scratch_init 0
		.amdhsa_user_sgpr_kernarg_preload_length 0
		.amdhsa_user_sgpr_kernarg_preload_offset 0
		.amdhsa_user_sgpr_private_segment_size 0
		.amdhsa_uses_dynamic_stack 0
		.amdhsa_system_sgpr_private_segment_wavefront_offset 0
		.amdhsa_system_sgpr_workgroup_id_x 1
		.amdhsa_system_sgpr_workgroup_id_y 0
		.amdhsa_system_sgpr_workgroup_id_z 0
		.amdhsa_system_sgpr_workgroup_info 0
		.amdhsa_system_vgpr_workitem_id 0
		.amdhsa_next_free_vgpr 3
		.amdhsa_next_free_sgpr 6
		.amdhsa_accum_offset 4
		.amdhsa_reserve_vcc 0
		.amdhsa_reserve_flat_scratch 0
		.amdhsa_float_round_mode_32 0
		.amdhsa_float_round_mode_16_64 0
		.amdhsa_float_denorm_mode_32 3
		.amdhsa_float_denorm_mode_16_64 3
		.amdhsa_dx10_clamp 1
		.amdhsa_ieee_mode 1
		.amdhsa_fp16_overflow 0
		.amdhsa_tg_split 0
		.amdhsa_exception_fp_ieee_invalid_op 0
		.amdhsa_exception_fp_denorm_src 0
		.amdhsa_exception_fp_ieee_div_zero 0
		.amdhsa_exception_fp_ieee_overflow 0
		.amdhsa_exception_fp_ieee_underflow 0
		.amdhsa_exception_fp_ieee_inexact 0
		.amdhsa_exception_int_div_zero 0
	.end_amdhsa_kernel
	.section	.text._Z20warp_exchange_kernelILj1024ELj1ELj64ELN6hipcub21WarpExchangeAlgorithmE1E18StripedToBlockedOpiEvPT4_S4_,"axG",@progbits,_Z20warp_exchange_kernelILj1024ELj1ELj64ELN6hipcub21WarpExchangeAlgorithmE1E18StripedToBlockedOpiEvPT4_S4_,comdat
.Lfunc_end65:
	.size	_Z20warp_exchange_kernelILj1024ELj1ELj64ELN6hipcub21WarpExchangeAlgorithmE1E18StripedToBlockedOpiEvPT4_S4_, .Lfunc_end65-_Z20warp_exchange_kernelILj1024ELj1ELj64ELN6hipcub21WarpExchangeAlgorithmE1E18StripedToBlockedOpiEvPT4_S4_
                                        ; -- End function
	.section	.AMDGPU.csdata,"",@progbits
; Kernel info:
; codeLenInByte = 72
; NumSgprs: 10
; NumVgprs: 3
; NumAgprs: 0
; TotalNumVgprs: 3
; ScratchSize: 0
; MemoryBound: 0
; FloatMode: 240
; IeeeMode: 1
; LDSByteSize: 0 bytes/workgroup (compile time only)
; SGPRBlocks: 1
; VGPRBlocks: 0
; NumSGPRsForWavesPerEU: 10
; NumVGPRsForWavesPerEU: 3
; AccumOffset: 4
; Occupancy: 8
; WaveLimiterHint : 0
; COMPUTE_PGM_RSRC2:SCRATCH_EN: 0
; COMPUTE_PGM_RSRC2:USER_SGPR: 6
; COMPUTE_PGM_RSRC2:TRAP_HANDLER: 0
; COMPUTE_PGM_RSRC2:TGID_X_EN: 1
; COMPUTE_PGM_RSRC2:TGID_Y_EN: 0
; COMPUTE_PGM_RSRC2:TGID_Z_EN: 0
; COMPUTE_PGM_RSRC2:TIDIG_COMP_CNT: 0
; COMPUTE_PGM_RSRC3_GFX90A:ACCUM_OFFSET: 0
; COMPUTE_PGM_RSRC3_GFX90A:TG_SPLIT: 0
	.section	.text._Z20warp_exchange_kernelILj1024ELj4ELj32ELN6hipcub21WarpExchangeAlgorithmE1E18StripedToBlockedOpiEvPT4_S4_,"axG",@progbits,_Z20warp_exchange_kernelILj1024ELj4ELj32ELN6hipcub21WarpExchangeAlgorithmE1E18StripedToBlockedOpiEvPT4_S4_,comdat
	.protected	_Z20warp_exchange_kernelILj1024ELj4ELj32ELN6hipcub21WarpExchangeAlgorithmE1E18StripedToBlockedOpiEvPT4_S4_ ; -- Begin function _Z20warp_exchange_kernelILj1024ELj4ELj32ELN6hipcub21WarpExchangeAlgorithmE1E18StripedToBlockedOpiEvPT4_S4_
	.globl	_Z20warp_exchange_kernelILj1024ELj4ELj32ELN6hipcub21WarpExchangeAlgorithmE1E18StripedToBlockedOpiEvPT4_S4_
	.p2align	8
	.type	_Z20warp_exchange_kernelILj1024ELj4ELj32ELN6hipcub21WarpExchangeAlgorithmE1E18StripedToBlockedOpiEvPT4_S4_,@function
_Z20warp_exchange_kernelILj1024ELj4ELj32ELN6hipcub21WarpExchangeAlgorithmE1E18StripedToBlockedOpiEvPT4_S4_: ; @_Z20warp_exchange_kernelILj1024ELj4ELj32ELN6hipcub21WarpExchangeAlgorithmE1E18StripedToBlockedOpiEvPT4_S4_
; %bb.0:
	s_load_dwordx4 s[0:3], s[4:5], 0x0
	v_lshlrev_b32_e32 v4, 4, v0
	v_mbcnt_lo_u32_b32 v5, -1, 0
	v_mbcnt_hi_u32_b32 v5, -1, v5
	v_lshlrev_b32_e32 v6, 2, v5
	s_waitcnt lgkmcnt(0)
	global_load_dwordx4 v[0:3], v4, s[0:1]
	v_and_b32_e32 v7, 0x60, v5
	v_and_or_b32 v6, v6, 28, v7
	v_lshlrev_b32_e32 v6, 2, v6
	v_bfe_u32 v5, v5, 3, 2
	v_cmp_eq_u32_e32 vcc, 1, v5
	s_waitcnt vmcnt(0)
	ds_bpermute_b32 v7, v6, v0
	ds_bpermute_b32 v8, v6, v1
	ds_bpermute_b32 v11, v6, v0 offset:4
	ds_bpermute_b32 v12, v6, v1 offset:4
	;; [unrolled: 1-line block ×6, first 2 shown]
	ds_bpermute_b32 v9, v6, v2
	ds_bpermute_b32 v13, v6, v2 offset:4
	ds_bpermute_b32 v17, v6, v2 offset:8
	;; [unrolled: 1-line block ×3, first 2 shown]
	ds_bpermute_b32 v10, v6, v3
	ds_bpermute_b32 v14, v6, v3 offset:4
	ds_bpermute_b32 v18, v6, v3 offset:8
	;; [unrolled: 1-line block ×3, first 2 shown]
	s_waitcnt lgkmcnt(14)
	v_cndmask_b32_e32 v6, v7, v8, vcc
	s_waitcnt lgkmcnt(12)
	v_cndmask_b32_e32 v7, v11, v12, vcc
	;; [unrolled: 2-line block ×4, first 2 shown]
	v_cmp_eq_u32_e32 vcc, 2, v5
	s_waitcnt lgkmcnt(7)
	v_cndmask_b32_e32 v1, v6, v9, vcc
	s_waitcnt lgkmcnt(6)
	v_cndmask_b32_e32 v6, v7, v13, vcc
	;; [unrolled: 2-line block ×4, first 2 shown]
	v_cmp_eq_u32_e32 vcc, 3, v5
	s_waitcnt lgkmcnt(3)
	v_cndmask_b32_e32 v0, v1, v10, vcc
	s_waitcnt lgkmcnt(2)
	v_cndmask_b32_e32 v1, v6, v14, vcc
	;; [unrolled: 2-line block ×4, first 2 shown]
	global_store_dwordx4 v4, v[0:3], s[2:3]
	s_endpgm
	.section	.rodata,"a",@progbits
	.p2align	6, 0x0
	.amdhsa_kernel _Z20warp_exchange_kernelILj1024ELj4ELj32ELN6hipcub21WarpExchangeAlgorithmE1E18StripedToBlockedOpiEvPT4_S4_
		.amdhsa_group_segment_fixed_size 0
		.amdhsa_private_segment_fixed_size 0
		.amdhsa_kernarg_size 16
		.amdhsa_user_sgpr_count 6
		.amdhsa_user_sgpr_private_segment_buffer 1
		.amdhsa_user_sgpr_dispatch_ptr 0
		.amdhsa_user_sgpr_queue_ptr 0
		.amdhsa_user_sgpr_kernarg_segment_ptr 1
		.amdhsa_user_sgpr_dispatch_id 0
		.amdhsa_user_sgpr_flat_scratch_init 0
		.amdhsa_user_sgpr_kernarg_preload_length 0
		.amdhsa_user_sgpr_kernarg_preload_offset 0
		.amdhsa_user_sgpr_private_segment_size 0
		.amdhsa_uses_dynamic_stack 0
		.amdhsa_system_sgpr_private_segment_wavefront_offset 0
		.amdhsa_system_sgpr_workgroup_id_x 1
		.amdhsa_system_sgpr_workgroup_id_y 0
		.amdhsa_system_sgpr_workgroup_id_z 0
		.amdhsa_system_sgpr_workgroup_info 0
		.amdhsa_system_vgpr_workitem_id 0
		.amdhsa_next_free_vgpr 19
		.amdhsa_next_free_sgpr 6
		.amdhsa_accum_offset 20
		.amdhsa_reserve_vcc 1
		.amdhsa_reserve_flat_scratch 0
		.amdhsa_float_round_mode_32 0
		.amdhsa_float_round_mode_16_64 0
		.amdhsa_float_denorm_mode_32 3
		.amdhsa_float_denorm_mode_16_64 3
		.amdhsa_dx10_clamp 1
		.amdhsa_ieee_mode 1
		.amdhsa_fp16_overflow 0
		.amdhsa_tg_split 0
		.amdhsa_exception_fp_ieee_invalid_op 0
		.amdhsa_exception_fp_denorm_src 0
		.amdhsa_exception_fp_ieee_div_zero 0
		.amdhsa_exception_fp_ieee_overflow 0
		.amdhsa_exception_fp_ieee_underflow 0
		.amdhsa_exception_fp_ieee_inexact 0
		.amdhsa_exception_int_div_zero 0
	.end_amdhsa_kernel
	.section	.text._Z20warp_exchange_kernelILj1024ELj4ELj32ELN6hipcub21WarpExchangeAlgorithmE1E18StripedToBlockedOpiEvPT4_S4_,"axG",@progbits,_Z20warp_exchange_kernelILj1024ELj4ELj32ELN6hipcub21WarpExchangeAlgorithmE1E18StripedToBlockedOpiEvPT4_S4_,comdat
.Lfunc_end66:
	.size	_Z20warp_exchange_kernelILj1024ELj4ELj32ELN6hipcub21WarpExchangeAlgorithmE1E18StripedToBlockedOpiEvPT4_S4_, .Lfunc_end66-_Z20warp_exchange_kernelILj1024ELj4ELj32ELN6hipcub21WarpExchangeAlgorithmE1E18StripedToBlockedOpiEvPT4_S4_
                                        ; -- End function
	.section	.AMDGPU.csdata,"",@progbits
; Kernel info:
; codeLenInByte = 324
; NumSgprs: 10
; NumVgprs: 19
; NumAgprs: 0
; TotalNumVgprs: 19
; ScratchSize: 0
; MemoryBound: 0
; FloatMode: 240
; IeeeMode: 1
; LDSByteSize: 0 bytes/workgroup (compile time only)
; SGPRBlocks: 1
; VGPRBlocks: 2
; NumSGPRsForWavesPerEU: 10
; NumVGPRsForWavesPerEU: 19
; AccumOffset: 20
; Occupancy: 8
; WaveLimiterHint : 0
; COMPUTE_PGM_RSRC2:SCRATCH_EN: 0
; COMPUTE_PGM_RSRC2:USER_SGPR: 6
; COMPUTE_PGM_RSRC2:TRAP_HANDLER: 0
; COMPUTE_PGM_RSRC2:TGID_X_EN: 1
; COMPUTE_PGM_RSRC2:TGID_Y_EN: 0
; COMPUTE_PGM_RSRC2:TGID_Z_EN: 0
; COMPUTE_PGM_RSRC2:TIDIG_COMP_CNT: 0
; COMPUTE_PGM_RSRC3_GFX90A:ACCUM_OFFSET: 4
; COMPUTE_PGM_RSRC3_GFX90A:TG_SPLIT: 0
	.section	.text._Z20warp_exchange_kernelILj1024ELj1ELj32ELN6hipcub21WarpExchangeAlgorithmE1E18StripedToBlockedOpiEvPT4_S4_,"axG",@progbits,_Z20warp_exchange_kernelILj1024ELj1ELj32ELN6hipcub21WarpExchangeAlgorithmE1E18StripedToBlockedOpiEvPT4_S4_,comdat
	.protected	_Z20warp_exchange_kernelILj1024ELj1ELj32ELN6hipcub21WarpExchangeAlgorithmE1E18StripedToBlockedOpiEvPT4_S4_ ; -- Begin function _Z20warp_exchange_kernelILj1024ELj1ELj32ELN6hipcub21WarpExchangeAlgorithmE1E18StripedToBlockedOpiEvPT4_S4_
	.globl	_Z20warp_exchange_kernelILj1024ELj1ELj32ELN6hipcub21WarpExchangeAlgorithmE1E18StripedToBlockedOpiEvPT4_S4_
	.p2align	8
	.type	_Z20warp_exchange_kernelILj1024ELj1ELj32ELN6hipcub21WarpExchangeAlgorithmE1E18StripedToBlockedOpiEvPT4_S4_,@function
_Z20warp_exchange_kernelILj1024ELj1ELj32ELN6hipcub21WarpExchangeAlgorithmE1E18StripedToBlockedOpiEvPT4_S4_: ; @_Z20warp_exchange_kernelILj1024ELj1ELj32ELN6hipcub21WarpExchangeAlgorithmE1E18StripedToBlockedOpiEvPT4_S4_
; %bb.0:
	s_load_dwordx4 s[0:3], s[4:5], 0x0
	v_lshlrev_b32_e32 v0, 2, v0
	v_mbcnt_lo_u32_b32 v2, -1, 0
	v_mbcnt_hi_u32_b32 v2, -1, v2
	v_lshlrev_b32_e32 v2, 2, v2
	s_waitcnt lgkmcnt(0)
	global_load_dword v1, v0, s[0:1]
	s_waitcnt vmcnt(0)
	ds_bpermute_b32 v1, v2, v1
	s_waitcnt lgkmcnt(0)
	global_store_dword v0, v1, s[2:3]
	s_endpgm
	.section	.rodata,"a",@progbits
	.p2align	6, 0x0
	.amdhsa_kernel _Z20warp_exchange_kernelILj1024ELj1ELj32ELN6hipcub21WarpExchangeAlgorithmE1E18StripedToBlockedOpiEvPT4_S4_
		.amdhsa_group_segment_fixed_size 0
		.amdhsa_private_segment_fixed_size 0
		.amdhsa_kernarg_size 16
		.amdhsa_user_sgpr_count 6
		.amdhsa_user_sgpr_private_segment_buffer 1
		.amdhsa_user_sgpr_dispatch_ptr 0
		.amdhsa_user_sgpr_queue_ptr 0
		.amdhsa_user_sgpr_kernarg_segment_ptr 1
		.amdhsa_user_sgpr_dispatch_id 0
		.amdhsa_user_sgpr_flat_scratch_init 0
		.amdhsa_user_sgpr_kernarg_preload_length 0
		.amdhsa_user_sgpr_kernarg_preload_offset 0
		.amdhsa_user_sgpr_private_segment_size 0
		.amdhsa_uses_dynamic_stack 0
		.amdhsa_system_sgpr_private_segment_wavefront_offset 0
		.amdhsa_system_sgpr_workgroup_id_x 1
		.amdhsa_system_sgpr_workgroup_id_y 0
		.amdhsa_system_sgpr_workgroup_id_z 0
		.amdhsa_system_sgpr_workgroup_info 0
		.amdhsa_system_vgpr_workitem_id 0
		.amdhsa_next_free_vgpr 3
		.amdhsa_next_free_sgpr 6
		.amdhsa_accum_offset 4
		.amdhsa_reserve_vcc 0
		.amdhsa_reserve_flat_scratch 0
		.amdhsa_float_round_mode_32 0
		.amdhsa_float_round_mode_16_64 0
		.amdhsa_float_denorm_mode_32 3
		.amdhsa_float_denorm_mode_16_64 3
		.amdhsa_dx10_clamp 1
		.amdhsa_ieee_mode 1
		.amdhsa_fp16_overflow 0
		.amdhsa_tg_split 0
		.amdhsa_exception_fp_ieee_invalid_op 0
		.amdhsa_exception_fp_denorm_src 0
		.amdhsa_exception_fp_ieee_div_zero 0
		.amdhsa_exception_fp_ieee_overflow 0
		.amdhsa_exception_fp_ieee_underflow 0
		.amdhsa_exception_fp_ieee_inexact 0
		.amdhsa_exception_int_div_zero 0
	.end_amdhsa_kernel
	.section	.text._Z20warp_exchange_kernelILj1024ELj1ELj32ELN6hipcub21WarpExchangeAlgorithmE1E18StripedToBlockedOpiEvPT4_S4_,"axG",@progbits,_Z20warp_exchange_kernelILj1024ELj1ELj32ELN6hipcub21WarpExchangeAlgorithmE1E18StripedToBlockedOpiEvPT4_S4_,comdat
.Lfunc_end67:
	.size	_Z20warp_exchange_kernelILj1024ELj1ELj32ELN6hipcub21WarpExchangeAlgorithmE1E18StripedToBlockedOpiEvPT4_S4_, .Lfunc_end67-_Z20warp_exchange_kernelILj1024ELj1ELj32ELN6hipcub21WarpExchangeAlgorithmE1E18StripedToBlockedOpiEvPT4_S4_
                                        ; -- End function
	.section	.AMDGPU.csdata,"",@progbits
; Kernel info:
; codeLenInByte = 72
; NumSgprs: 10
; NumVgprs: 3
; NumAgprs: 0
; TotalNumVgprs: 3
; ScratchSize: 0
; MemoryBound: 0
; FloatMode: 240
; IeeeMode: 1
; LDSByteSize: 0 bytes/workgroup (compile time only)
; SGPRBlocks: 1
; VGPRBlocks: 0
; NumSGPRsForWavesPerEU: 10
; NumVGPRsForWavesPerEU: 3
; AccumOffset: 4
; Occupancy: 8
; WaveLimiterHint : 0
; COMPUTE_PGM_RSRC2:SCRATCH_EN: 0
; COMPUTE_PGM_RSRC2:USER_SGPR: 6
; COMPUTE_PGM_RSRC2:TRAP_HANDLER: 0
; COMPUTE_PGM_RSRC2:TGID_X_EN: 1
; COMPUTE_PGM_RSRC2:TGID_Y_EN: 0
; COMPUTE_PGM_RSRC2:TGID_Z_EN: 0
; COMPUTE_PGM_RSRC2:TIDIG_COMP_CNT: 0
; COMPUTE_PGM_RSRC3_GFX90A:ACCUM_OFFSET: 0
; COMPUTE_PGM_RSRC3_GFX90A:TG_SPLIT: 0
	.section	.text._Z20warp_exchange_kernelILj1024ELj4ELj16ELN6hipcub21WarpExchangeAlgorithmE1E18StripedToBlockedOpiEvPT4_S4_,"axG",@progbits,_Z20warp_exchange_kernelILj1024ELj4ELj16ELN6hipcub21WarpExchangeAlgorithmE1E18StripedToBlockedOpiEvPT4_S4_,comdat
	.protected	_Z20warp_exchange_kernelILj1024ELj4ELj16ELN6hipcub21WarpExchangeAlgorithmE1E18StripedToBlockedOpiEvPT4_S4_ ; -- Begin function _Z20warp_exchange_kernelILj1024ELj4ELj16ELN6hipcub21WarpExchangeAlgorithmE1E18StripedToBlockedOpiEvPT4_S4_
	.globl	_Z20warp_exchange_kernelILj1024ELj4ELj16ELN6hipcub21WarpExchangeAlgorithmE1E18StripedToBlockedOpiEvPT4_S4_
	.p2align	8
	.type	_Z20warp_exchange_kernelILj1024ELj4ELj16ELN6hipcub21WarpExchangeAlgorithmE1E18StripedToBlockedOpiEvPT4_S4_,@function
_Z20warp_exchange_kernelILj1024ELj4ELj16ELN6hipcub21WarpExchangeAlgorithmE1E18StripedToBlockedOpiEvPT4_S4_: ; @_Z20warp_exchange_kernelILj1024ELj4ELj16ELN6hipcub21WarpExchangeAlgorithmE1E18StripedToBlockedOpiEvPT4_S4_
; %bb.0:
	s_load_dwordx4 s[0:3], s[4:5], 0x0
	v_lshlrev_b32_e32 v4, 4, v0
	v_mbcnt_lo_u32_b32 v5, -1, 0
	v_mbcnt_hi_u32_b32 v5, -1, v5
	v_lshlrev_b32_e32 v6, 2, v5
	s_waitcnt lgkmcnt(0)
	global_load_dwordx4 v[0:3], v4, s[0:1]
	v_and_b32_e32 v7, 0x70, v5
	v_and_or_b32 v6, v6, 12, v7
	v_lshlrev_b32_e32 v6, 2, v6
	v_bfe_u32 v5, v5, 2, 2
	v_cmp_eq_u32_e32 vcc, 1, v5
	s_waitcnt vmcnt(0)
	ds_bpermute_b32 v7, v6, v0
	ds_bpermute_b32 v8, v6, v1
	ds_bpermute_b32 v11, v6, v0 offset:4
	ds_bpermute_b32 v12, v6, v1 offset:4
	;; [unrolled: 1-line block ×6, first 2 shown]
	ds_bpermute_b32 v9, v6, v2
	ds_bpermute_b32 v13, v6, v2 offset:4
	ds_bpermute_b32 v17, v6, v2 offset:8
	;; [unrolled: 1-line block ×3, first 2 shown]
	ds_bpermute_b32 v10, v6, v3
	ds_bpermute_b32 v14, v6, v3 offset:4
	ds_bpermute_b32 v18, v6, v3 offset:8
	;; [unrolled: 1-line block ×3, first 2 shown]
	s_waitcnt lgkmcnt(14)
	v_cndmask_b32_e32 v6, v7, v8, vcc
	s_waitcnt lgkmcnt(12)
	v_cndmask_b32_e32 v7, v11, v12, vcc
	;; [unrolled: 2-line block ×4, first 2 shown]
	v_cmp_eq_u32_e32 vcc, 2, v5
	s_waitcnt lgkmcnt(7)
	v_cndmask_b32_e32 v1, v6, v9, vcc
	s_waitcnt lgkmcnt(6)
	v_cndmask_b32_e32 v6, v7, v13, vcc
	;; [unrolled: 2-line block ×4, first 2 shown]
	v_cmp_eq_u32_e32 vcc, 3, v5
	s_waitcnt lgkmcnt(3)
	v_cndmask_b32_e32 v0, v1, v10, vcc
	s_waitcnt lgkmcnt(2)
	v_cndmask_b32_e32 v1, v6, v14, vcc
	s_waitcnt lgkmcnt(1)
	v_cndmask_b32_e32 v2, v7, v18, vcc
	s_waitcnt lgkmcnt(0)
	v_cndmask_b32_e32 v3, v8, v3, vcc
	global_store_dwordx4 v4, v[0:3], s[2:3]
	s_endpgm
	.section	.rodata,"a",@progbits
	.p2align	6, 0x0
	.amdhsa_kernel _Z20warp_exchange_kernelILj1024ELj4ELj16ELN6hipcub21WarpExchangeAlgorithmE1E18StripedToBlockedOpiEvPT4_S4_
		.amdhsa_group_segment_fixed_size 0
		.amdhsa_private_segment_fixed_size 0
		.amdhsa_kernarg_size 16
		.amdhsa_user_sgpr_count 6
		.amdhsa_user_sgpr_private_segment_buffer 1
		.amdhsa_user_sgpr_dispatch_ptr 0
		.amdhsa_user_sgpr_queue_ptr 0
		.amdhsa_user_sgpr_kernarg_segment_ptr 1
		.amdhsa_user_sgpr_dispatch_id 0
		.amdhsa_user_sgpr_flat_scratch_init 0
		.amdhsa_user_sgpr_kernarg_preload_length 0
		.amdhsa_user_sgpr_kernarg_preload_offset 0
		.amdhsa_user_sgpr_private_segment_size 0
		.amdhsa_uses_dynamic_stack 0
		.amdhsa_system_sgpr_private_segment_wavefront_offset 0
		.amdhsa_system_sgpr_workgroup_id_x 1
		.amdhsa_system_sgpr_workgroup_id_y 0
		.amdhsa_system_sgpr_workgroup_id_z 0
		.amdhsa_system_sgpr_workgroup_info 0
		.amdhsa_system_vgpr_workitem_id 0
		.amdhsa_next_free_vgpr 19
		.amdhsa_next_free_sgpr 6
		.amdhsa_accum_offset 20
		.amdhsa_reserve_vcc 1
		.amdhsa_reserve_flat_scratch 0
		.amdhsa_float_round_mode_32 0
		.amdhsa_float_round_mode_16_64 0
		.amdhsa_float_denorm_mode_32 3
		.amdhsa_float_denorm_mode_16_64 3
		.amdhsa_dx10_clamp 1
		.amdhsa_ieee_mode 1
		.amdhsa_fp16_overflow 0
		.amdhsa_tg_split 0
		.amdhsa_exception_fp_ieee_invalid_op 0
		.amdhsa_exception_fp_denorm_src 0
		.amdhsa_exception_fp_ieee_div_zero 0
		.amdhsa_exception_fp_ieee_overflow 0
		.amdhsa_exception_fp_ieee_underflow 0
		.amdhsa_exception_fp_ieee_inexact 0
		.amdhsa_exception_int_div_zero 0
	.end_amdhsa_kernel
	.section	.text._Z20warp_exchange_kernelILj1024ELj4ELj16ELN6hipcub21WarpExchangeAlgorithmE1E18StripedToBlockedOpiEvPT4_S4_,"axG",@progbits,_Z20warp_exchange_kernelILj1024ELj4ELj16ELN6hipcub21WarpExchangeAlgorithmE1E18StripedToBlockedOpiEvPT4_S4_,comdat
.Lfunc_end68:
	.size	_Z20warp_exchange_kernelILj1024ELj4ELj16ELN6hipcub21WarpExchangeAlgorithmE1E18StripedToBlockedOpiEvPT4_S4_, .Lfunc_end68-_Z20warp_exchange_kernelILj1024ELj4ELj16ELN6hipcub21WarpExchangeAlgorithmE1E18StripedToBlockedOpiEvPT4_S4_
                                        ; -- End function
	.section	.AMDGPU.csdata,"",@progbits
; Kernel info:
; codeLenInByte = 324
; NumSgprs: 10
; NumVgprs: 19
; NumAgprs: 0
; TotalNumVgprs: 19
; ScratchSize: 0
; MemoryBound: 0
; FloatMode: 240
; IeeeMode: 1
; LDSByteSize: 0 bytes/workgroup (compile time only)
; SGPRBlocks: 1
; VGPRBlocks: 2
; NumSGPRsForWavesPerEU: 10
; NumVGPRsForWavesPerEU: 19
; AccumOffset: 20
; Occupancy: 8
; WaveLimiterHint : 0
; COMPUTE_PGM_RSRC2:SCRATCH_EN: 0
; COMPUTE_PGM_RSRC2:USER_SGPR: 6
; COMPUTE_PGM_RSRC2:TRAP_HANDLER: 0
; COMPUTE_PGM_RSRC2:TGID_X_EN: 1
; COMPUTE_PGM_RSRC2:TGID_Y_EN: 0
; COMPUTE_PGM_RSRC2:TGID_Z_EN: 0
; COMPUTE_PGM_RSRC2:TIDIG_COMP_CNT: 0
; COMPUTE_PGM_RSRC3_GFX90A:ACCUM_OFFSET: 4
; COMPUTE_PGM_RSRC3_GFX90A:TG_SPLIT: 0
	.section	.text._Z20warp_exchange_kernelILj1024ELj1ELj16ELN6hipcub21WarpExchangeAlgorithmE1E18StripedToBlockedOpiEvPT4_S4_,"axG",@progbits,_Z20warp_exchange_kernelILj1024ELj1ELj16ELN6hipcub21WarpExchangeAlgorithmE1E18StripedToBlockedOpiEvPT4_S4_,comdat
	.protected	_Z20warp_exchange_kernelILj1024ELj1ELj16ELN6hipcub21WarpExchangeAlgorithmE1E18StripedToBlockedOpiEvPT4_S4_ ; -- Begin function _Z20warp_exchange_kernelILj1024ELj1ELj16ELN6hipcub21WarpExchangeAlgorithmE1E18StripedToBlockedOpiEvPT4_S4_
	.globl	_Z20warp_exchange_kernelILj1024ELj1ELj16ELN6hipcub21WarpExchangeAlgorithmE1E18StripedToBlockedOpiEvPT4_S4_
	.p2align	8
	.type	_Z20warp_exchange_kernelILj1024ELj1ELj16ELN6hipcub21WarpExchangeAlgorithmE1E18StripedToBlockedOpiEvPT4_S4_,@function
_Z20warp_exchange_kernelILj1024ELj1ELj16ELN6hipcub21WarpExchangeAlgorithmE1E18StripedToBlockedOpiEvPT4_S4_: ; @_Z20warp_exchange_kernelILj1024ELj1ELj16ELN6hipcub21WarpExchangeAlgorithmE1E18StripedToBlockedOpiEvPT4_S4_
; %bb.0:
	s_load_dwordx4 s[0:3], s[4:5], 0x0
	v_lshlrev_b32_e32 v0, 2, v0
	v_mbcnt_lo_u32_b32 v2, -1, 0
	v_mbcnt_hi_u32_b32 v2, -1, v2
	v_lshlrev_b32_e32 v2, 2, v2
	s_waitcnt lgkmcnt(0)
	global_load_dword v1, v0, s[0:1]
	s_waitcnt vmcnt(0)
	ds_bpermute_b32 v1, v2, v1
	s_waitcnt lgkmcnt(0)
	global_store_dword v0, v1, s[2:3]
	s_endpgm
	.section	.rodata,"a",@progbits
	.p2align	6, 0x0
	.amdhsa_kernel _Z20warp_exchange_kernelILj1024ELj1ELj16ELN6hipcub21WarpExchangeAlgorithmE1E18StripedToBlockedOpiEvPT4_S4_
		.amdhsa_group_segment_fixed_size 0
		.amdhsa_private_segment_fixed_size 0
		.amdhsa_kernarg_size 16
		.amdhsa_user_sgpr_count 6
		.amdhsa_user_sgpr_private_segment_buffer 1
		.amdhsa_user_sgpr_dispatch_ptr 0
		.amdhsa_user_sgpr_queue_ptr 0
		.amdhsa_user_sgpr_kernarg_segment_ptr 1
		.amdhsa_user_sgpr_dispatch_id 0
		.amdhsa_user_sgpr_flat_scratch_init 0
		.amdhsa_user_sgpr_kernarg_preload_length 0
		.amdhsa_user_sgpr_kernarg_preload_offset 0
		.amdhsa_user_sgpr_private_segment_size 0
		.amdhsa_uses_dynamic_stack 0
		.amdhsa_system_sgpr_private_segment_wavefront_offset 0
		.amdhsa_system_sgpr_workgroup_id_x 1
		.amdhsa_system_sgpr_workgroup_id_y 0
		.amdhsa_system_sgpr_workgroup_id_z 0
		.amdhsa_system_sgpr_workgroup_info 0
		.amdhsa_system_vgpr_workitem_id 0
		.amdhsa_next_free_vgpr 3
		.amdhsa_next_free_sgpr 6
		.amdhsa_accum_offset 4
		.amdhsa_reserve_vcc 0
		.amdhsa_reserve_flat_scratch 0
		.amdhsa_float_round_mode_32 0
		.amdhsa_float_round_mode_16_64 0
		.amdhsa_float_denorm_mode_32 3
		.amdhsa_float_denorm_mode_16_64 3
		.amdhsa_dx10_clamp 1
		.amdhsa_ieee_mode 1
		.amdhsa_fp16_overflow 0
		.amdhsa_tg_split 0
		.amdhsa_exception_fp_ieee_invalid_op 0
		.amdhsa_exception_fp_denorm_src 0
		.amdhsa_exception_fp_ieee_div_zero 0
		.amdhsa_exception_fp_ieee_overflow 0
		.amdhsa_exception_fp_ieee_underflow 0
		.amdhsa_exception_fp_ieee_inexact 0
		.amdhsa_exception_int_div_zero 0
	.end_amdhsa_kernel
	.section	.text._Z20warp_exchange_kernelILj1024ELj1ELj16ELN6hipcub21WarpExchangeAlgorithmE1E18StripedToBlockedOpiEvPT4_S4_,"axG",@progbits,_Z20warp_exchange_kernelILj1024ELj1ELj16ELN6hipcub21WarpExchangeAlgorithmE1E18StripedToBlockedOpiEvPT4_S4_,comdat
.Lfunc_end69:
	.size	_Z20warp_exchange_kernelILj1024ELj1ELj16ELN6hipcub21WarpExchangeAlgorithmE1E18StripedToBlockedOpiEvPT4_S4_, .Lfunc_end69-_Z20warp_exchange_kernelILj1024ELj1ELj16ELN6hipcub21WarpExchangeAlgorithmE1E18StripedToBlockedOpiEvPT4_S4_
                                        ; -- End function
	.section	.AMDGPU.csdata,"",@progbits
; Kernel info:
; codeLenInByte = 72
; NumSgprs: 10
; NumVgprs: 3
; NumAgprs: 0
; TotalNumVgprs: 3
; ScratchSize: 0
; MemoryBound: 0
; FloatMode: 240
; IeeeMode: 1
; LDSByteSize: 0 bytes/workgroup (compile time only)
; SGPRBlocks: 1
; VGPRBlocks: 0
; NumSGPRsForWavesPerEU: 10
; NumVGPRsForWavesPerEU: 3
; AccumOffset: 4
; Occupancy: 8
; WaveLimiterHint : 0
; COMPUTE_PGM_RSRC2:SCRATCH_EN: 0
; COMPUTE_PGM_RSRC2:USER_SGPR: 6
; COMPUTE_PGM_RSRC2:TRAP_HANDLER: 0
; COMPUTE_PGM_RSRC2:TGID_X_EN: 1
; COMPUTE_PGM_RSRC2:TGID_Y_EN: 0
; COMPUTE_PGM_RSRC2:TGID_Z_EN: 0
; COMPUTE_PGM_RSRC2:TIDIG_COMP_CNT: 0
; COMPUTE_PGM_RSRC3_GFX90A:ACCUM_OFFSET: 0
; COMPUTE_PGM_RSRC3_GFX90A:TG_SPLIT: 0
	.section	.text._Z20warp_exchange_kernelILj1024ELj4ELj8ELN6hipcub21WarpExchangeAlgorithmE1E18StripedToBlockedOpiEvPT4_S4_,"axG",@progbits,_Z20warp_exchange_kernelILj1024ELj4ELj8ELN6hipcub21WarpExchangeAlgorithmE1E18StripedToBlockedOpiEvPT4_S4_,comdat
	.protected	_Z20warp_exchange_kernelILj1024ELj4ELj8ELN6hipcub21WarpExchangeAlgorithmE1E18StripedToBlockedOpiEvPT4_S4_ ; -- Begin function _Z20warp_exchange_kernelILj1024ELj4ELj8ELN6hipcub21WarpExchangeAlgorithmE1E18StripedToBlockedOpiEvPT4_S4_
	.globl	_Z20warp_exchange_kernelILj1024ELj4ELj8ELN6hipcub21WarpExchangeAlgorithmE1E18StripedToBlockedOpiEvPT4_S4_
	.p2align	8
	.type	_Z20warp_exchange_kernelILj1024ELj4ELj8ELN6hipcub21WarpExchangeAlgorithmE1E18StripedToBlockedOpiEvPT4_S4_,@function
_Z20warp_exchange_kernelILj1024ELj4ELj8ELN6hipcub21WarpExchangeAlgorithmE1E18StripedToBlockedOpiEvPT4_S4_: ; @_Z20warp_exchange_kernelILj1024ELj4ELj8ELN6hipcub21WarpExchangeAlgorithmE1E18StripedToBlockedOpiEvPT4_S4_
; %bb.0:
	s_load_dwordx4 s[0:3], s[4:5], 0x0
	v_lshlrev_b32_e32 v4, 4, v0
	v_mbcnt_lo_u32_b32 v5, -1, 0
	v_mbcnt_hi_u32_b32 v5, -1, v5
	v_lshlrev_b32_e32 v6, 2, v5
	s_waitcnt lgkmcnt(0)
	global_load_dwordx4 v[0:3], v4, s[0:1]
	v_and_b32_e32 v7, 0x78, v5
	v_and_or_b32 v6, v6, 4, v7
	v_lshlrev_b32_e32 v6, 2, v6
	v_bfe_u32 v5, v5, 1, 2
	v_cmp_eq_u32_e32 vcc, 1, v5
	s_waitcnt vmcnt(0)
	ds_bpermute_b32 v7, v6, v0
	ds_bpermute_b32 v8, v6, v1
	ds_bpermute_b32 v11, v6, v0 offset:4
	ds_bpermute_b32 v12, v6, v1 offset:4
	;; [unrolled: 1-line block ×6, first 2 shown]
	ds_bpermute_b32 v9, v6, v2
	ds_bpermute_b32 v13, v6, v2 offset:4
	ds_bpermute_b32 v17, v6, v2 offset:8
	;; [unrolled: 1-line block ×3, first 2 shown]
	ds_bpermute_b32 v10, v6, v3
	ds_bpermute_b32 v14, v6, v3 offset:4
	ds_bpermute_b32 v18, v6, v3 offset:8
	;; [unrolled: 1-line block ×3, first 2 shown]
	s_waitcnt lgkmcnt(14)
	v_cndmask_b32_e32 v6, v7, v8, vcc
	s_waitcnt lgkmcnt(12)
	v_cndmask_b32_e32 v7, v11, v12, vcc
	;; [unrolled: 2-line block ×4, first 2 shown]
	v_cmp_eq_u32_e32 vcc, 2, v5
	s_waitcnt lgkmcnt(7)
	v_cndmask_b32_e32 v1, v6, v9, vcc
	s_waitcnt lgkmcnt(6)
	v_cndmask_b32_e32 v6, v7, v13, vcc
	;; [unrolled: 2-line block ×4, first 2 shown]
	v_cmp_eq_u32_e32 vcc, 3, v5
	s_waitcnt lgkmcnt(3)
	v_cndmask_b32_e32 v0, v1, v10, vcc
	s_waitcnt lgkmcnt(2)
	v_cndmask_b32_e32 v1, v6, v14, vcc
	;; [unrolled: 2-line block ×4, first 2 shown]
	global_store_dwordx4 v4, v[0:3], s[2:3]
	s_endpgm
	.section	.rodata,"a",@progbits
	.p2align	6, 0x0
	.amdhsa_kernel _Z20warp_exchange_kernelILj1024ELj4ELj8ELN6hipcub21WarpExchangeAlgorithmE1E18StripedToBlockedOpiEvPT4_S4_
		.amdhsa_group_segment_fixed_size 0
		.amdhsa_private_segment_fixed_size 0
		.amdhsa_kernarg_size 16
		.amdhsa_user_sgpr_count 6
		.amdhsa_user_sgpr_private_segment_buffer 1
		.amdhsa_user_sgpr_dispatch_ptr 0
		.amdhsa_user_sgpr_queue_ptr 0
		.amdhsa_user_sgpr_kernarg_segment_ptr 1
		.amdhsa_user_sgpr_dispatch_id 0
		.amdhsa_user_sgpr_flat_scratch_init 0
		.amdhsa_user_sgpr_kernarg_preload_length 0
		.amdhsa_user_sgpr_kernarg_preload_offset 0
		.amdhsa_user_sgpr_private_segment_size 0
		.amdhsa_uses_dynamic_stack 0
		.amdhsa_system_sgpr_private_segment_wavefront_offset 0
		.amdhsa_system_sgpr_workgroup_id_x 1
		.amdhsa_system_sgpr_workgroup_id_y 0
		.amdhsa_system_sgpr_workgroup_id_z 0
		.amdhsa_system_sgpr_workgroup_info 0
		.amdhsa_system_vgpr_workitem_id 0
		.amdhsa_next_free_vgpr 19
		.amdhsa_next_free_sgpr 6
		.amdhsa_accum_offset 20
		.amdhsa_reserve_vcc 1
		.amdhsa_reserve_flat_scratch 0
		.amdhsa_float_round_mode_32 0
		.amdhsa_float_round_mode_16_64 0
		.amdhsa_float_denorm_mode_32 3
		.amdhsa_float_denorm_mode_16_64 3
		.amdhsa_dx10_clamp 1
		.amdhsa_ieee_mode 1
		.amdhsa_fp16_overflow 0
		.amdhsa_tg_split 0
		.amdhsa_exception_fp_ieee_invalid_op 0
		.amdhsa_exception_fp_denorm_src 0
		.amdhsa_exception_fp_ieee_div_zero 0
		.amdhsa_exception_fp_ieee_overflow 0
		.amdhsa_exception_fp_ieee_underflow 0
		.amdhsa_exception_fp_ieee_inexact 0
		.amdhsa_exception_int_div_zero 0
	.end_amdhsa_kernel
	.section	.text._Z20warp_exchange_kernelILj1024ELj4ELj8ELN6hipcub21WarpExchangeAlgorithmE1E18StripedToBlockedOpiEvPT4_S4_,"axG",@progbits,_Z20warp_exchange_kernelILj1024ELj4ELj8ELN6hipcub21WarpExchangeAlgorithmE1E18StripedToBlockedOpiEvPT4_S4_,comdat
.Lfunc_end70:
	.size	_Z20warp_exchange_kernelILj1024ELj4ELj8ELN6hipcub21WarpExchangeAlgorithmE1E18StripedToBlockedOpiEvPT4_S4_, .Lfunc_end70-_Z20warp_exchange_kernelILj1024ELj4ELj8ELN6hipcub21WarpExchangeAlgorithmE1E18StripedToBlockedOpiEvPT4_S4_
                                        ; -- End function
	.section	.AMDGPU.csdata,"",@progbits
; Kernel info:
; codeLenInByte = 324
; NumSgprs: 10
; NumVgprs: 19
; NumAgprs: 0
; TotalNumVgprs: 19
; ScratchSize: 0
; MemoryBound: 0
; FloatMode: 240
; IeeeMode: 1
; LDSByteSize: 0 bytes/workgroup (compile time only)
; SGPRBlocks: 1
; VGPRBlocks: 2
; NumSGPRsForWavesPerEU: 10
; NumVGPRsForWavesPerEU: 19
; AccumOffset: 20
; Occupancy: 8
; WaveLimiterHint : 0
; COMPUTE_PGM_RSRC2:SCRATCH_EN: 0
; COMPUTE_PGM_RSRC2:USER_SGPR: 6
; COMPUTE_PGM_RSRC2:TRAP_HANDLER: 0
; COMPUTE_PGM_RSRC2:TGID_X_EN: 1
; COMPUTE_PGM_RSRC2:TGID_Y_EN: 0
; COMPUTE_PGM_RSRC2:TGID_Z_EN: 0
; COMPUTE_PGM_RSRC2:TIDIG_COMP_CNT: 0
; COMPUTE_PGM_RSRC3_GFX90A:ACCUM_OFFSET: 4
; COMPUTE_PGM_RSRC3_GFX90A:TG_SPLIT: 0
	.section	.text._Z20warp_exchange_kernelILj1024ELj1ELj8ELN6hipcub21WarpExchangeAlgorithmE1E18StripedToBlockedOpiEvPT4_S4_,"axG",@progbits,_Z20warp_exchange_kernelILj1024ELj1ELj8ELN6hipcub21WarpExchangeAlgorithmE1E18StripedToBlockedOpiEvPT4_S4_,comdat
	.protected	_Z20warp_exchange_kernelILj1024ELj1ELj8ELN6hipcub21WarpExchangeAlgorithmE1E18StripedToBlockedOpiEvPT4_S4_ ; -- Begin function _Z20warp_exchange_kernelILj1024ELj1ELj8ELN6hipcub21WarpExchangeAlgorithmE1E18StripedToBlockedOpiEvPT4_S4_
	.globl	_Z20warp_exchange_kernelILj1024ELj1ELj8ELN6hipcub21WarpExchangeAlgorithmE1E18StripedToBlockedOpiEvPT4_S4_
	.p2align	8
	.type	_Z20warp_exchange_kernelILj1024ELj1ELj8ELN6hipcub21WarpExchangeAlgorithmE1E18StripedToBlockedOpiEvPT4_S4_,@function
_Z20warp_exchange_kernelILj1024ELj1ELj8ELN6hipcub21WarpExchangeAlgorithmE1E18StripedToBlockedOpiEvPT4_S4_: ; @_Z20warp_exchange_kernelILj1024ELj1ELj8ELN6hipcub21WarpExchangeAlgorithmE1E18StripedToBlockedOpiEvPT4_S4_
; %bb.0:
	s_load_dwordx4 s[0:3], s[4:5], 0x0
	v_lshlrev_b32_e32 v0, 2, v0
	v_mbcnt_lo_u32_b32 v2, -1, 0
	v_mbcnt_hi_u32_b32 v2, -1, v2
	v_lshlrev_b32_e32 v2, 2, v2
	s_waitcnt lgkmcnt(0)
	global_load_dword v1, v0, s[0:1]
	s_waitcnt vmcnt(0)
	ds_bpermute_b32 v1, v2, v1
	s_waitcnt lgkmcnt(0)
	global_store_dword v0, v1, s[2:3]
	s_endpgm
	.section	.rodata,"a",@progbits
	.p2align	6, 0x0
	.amdhsa_kernel _Z20warp_exchange_kernelILj1024ELj1ELj8ELN6hipcub21WarpExchangeAlgorithmE1E18StripedToBlockedOpiEvPT4_S4_
		.amdhsa_group_segment_fixed_size 0
		.amdhsa_private_segment_fixed_size 0
		.amdhsa_kernarg_size 16
		.amdhsa_user_sgpr_count 6
		.amdhsa_user_sgpr_private_segment_buffer 1
		.amdhsa_user_sgpr_dispatch_ptr 0
		.amdhsa_user_sgpr_queue_ptr 0
		.amdhsa_user_sgpr_kernarg_segment_ptr 1
		.amdhsa_user_sgpr_dispatch_id 0
		.amdhsa_user_sgpr_flat_scratch_init 0
		.amdhsa_user_sgpr_kernarg_preload_length 0
		.amdhsa_user_sgpr_kernarg_preload_offset 0
		.amdhsa_user_sgpr_private_segment_size 0
		.amdhsa_uses_dynamic_stack 0
		.amdhsa_system_sgpr_private_segment_wavefront_offset 0
		.amdhsa_system_sgpr_workgroup_id_x 1
		.amdhsa_system_sgpr_workgroup_id_y 0
		.amdhsa_system_sgpr_workgroup_id_z 0
		.amdhsa_system_sgpr_workgroup_info 0
		.amdhsa_system_vgpr_workitem_id 0
		.amdhsa_next_free_vgpr 3
		.amdhsa_next_free_sgpr 6
		.amdhsa_accum_offset 4
		.amdhsa_reserve_vcc 0
		.amdhsa_reserve_flat_scratch 0
		.amdhsa_float_round_mode_32 0
		.amdhsa_float_round_mode_16_64 0
		.amdhsa_float_denorm_mode_32 3
		.amdhsa_float_denorm_mode_16_64 3
		.amdhsa_dx10_clamp 1
		.amdhsa_ieee_mode 1
		.amdhsa_fp16_overflow 0
		.amdhsa_tg_split 0
		.amdhsa_exception_fp_ieee_invalid_op 0
		.amdhsa_exception_fp_denorm_src 0
		.amdhsa_exception_fp_ieee_div_zero 0
		.amdhsa_exception_fp_ieee_overflow 0
		.amdhsa_exception_fp_ieee_underflow 0
		.amdhsa_exception_fp_ieee_inexact 0
		.amdhsa_exception_int_div_zero 0
	.end_amdhsa_kernel
	.section	.text._Z20warp_exchange_kernelILj1024ELj1ELj8ELN6hipcub21WarpExchangeAlgorithmE1E18StripedToBlockedOpiEvPT4_S4_,"axG",@progbits,_Z20warp_exchange_kernelILj1024ELj1ELj8ELN6hipcub21WarpExchangeAlgorithmE1E18StripedToBlockedOpiEvPT4_S4_,comdat
.Lfunc_end71:
	.size	_Z20warp_exchange_kernelILj1024ELj1ELj8ELN6hipcub21WarpExchangeAlgorithmE1E18StripedToBlockedOpiEvPT4_S4_, .Lfunc_end71-_Z20warp_exchange_kernelILj1024ELj1ELj8ELN6hipcub21WarpExchangeAlgorithmE1E18StripedToBlockedOpiEvPT4_S4_
                                        ; -- End function
	.section	.AMDGPU.csdata,"",@progbits
; Kernel info:
; codeLenInByte = 72
; NumSgprs: 10
; NumVgprs: 3
; NumAgprs: 0
; TotalNumVgprs: 3
; ScratchSize: 0
; MemoryBound: 0
; FloatMode: 240
; IeeeMode: 1
; LDSByteSize: 0 bytes/workgroup (compile time only)
; SGPRBlocks: 1
; VGPRBlocks: 0
; NumSGPRsForWavesPerEU: 10
; NumVGPRsForWavesPerEU: 3
; AccumOffset: 4
; Occupancy: 8
; WaveLimiterHint : 0
; COMPUTE_PGM_RSRC2:SCRATCH_EN: 0
; COMPUTE_PGM_RSRC2:USER_SGPR: 6
; COMPUTE_PGM_RSRC2:TRAP_HANDLER: 0
; COMPUTE_PGM_RSRC2:TGID_X_EN: 1
; COMPUTE_PGM_RSRC2:TGID_Y_EN: 0
; COMPUTE_PGM_RSRC2:TGID_Z_EN: 0
; COMPUTE_PGM_RSRC2:TIDIG_COMP_CNT: 0
; COMPUTE_PGM_RSRC3_GFX90A:ACCUM_OFFSET: 0
; COMPUTE_PGM_RSRC3_GFX90A:TG_SPLIT: 0
	.section	.text._Z20warp_exchange_kernelILj1024ELj4ELj64ELN6hipcub21WarpExchangeAlgorithmE1E18StripedToBlockedOpcEvPT4_S4_,"axG",@progbits,_Z20warp_exchange_kernelILj1024ELj4ELj64ELN6hipcub21WarpExchangeAlgorithmE1E18StripedToBlockedOpcEvPT4_S4_,comdat
	.protected	_Z20warp_exchange_kernelILj1024ELj4ELj64ELN6hipcub21WarpExchangeAlgorithmE1E18StripedToBlockedOpcEvPT4_S4_ ; -- Begin function _Z20warp_exchange_kernelILj1024ELj4ELj64ELN6hipcub21WarpExchangeAlgorithmE1E18StripedToBlockedOpcEvPT4_S4_
	.globl	_Z20warp_exchange_kernelILj1024ELj4ELj64ELN6hipcub21WarpExchangeAlgorithmE1E18StripedToBlockedOpcEvPT4_S4_
	.p2align	8
	.type	_Z20warp_exchange_kernelILj1024ELj4ELj64ELN6hipcub21WarpExchangeAlgorithmE1E18StripedToBlockedOpcEvPT4_S4_,@function
_Z20warp_exchange_kernelILj1024ELj4ELj64ELN6hipcub21WarpExchangeAlgorithmE1E18StripedToBlockedOpcEvPT4_S4_: ; @_Z20warp_exchange_kernelILj1024ELj4ELj64ELN6hipcub21WarpExchangeAlgorithmE1E18StripedToBlockedOpcEvPT4_S4_
; %bb.0:
	s_load_dwordx4 s[4:7], s[4:5], 0x0
	v_lshlrev_b32_e32 v0, 2, v0
	v_mbcnt_lo_u32_b32 v2, -1, 0
	v_mbcnt_hi_u32_b32 v2, -1, v2
	v_lshlrev_b32_e32 v3, 2, v2
	s_waitcnt lgkmcnt(0)
	global_load_dword v1, v0, s[4:5]
	v_and_b32_e32 v4, 64, v2
	v_and_or_b32 v3, v3, 60, v4
	v_lshlrev_b32_e32 v3, 2, v3
	s_mov_b32 s2, 0x3020104
	v_lshrrev_b32_e32 v5, 4, v2
	v_cmp_eq_u32_e32 vcc, 1, v5
	v_cmp_eq_u32_e64 s[0:1], 2, v5
	s_mov_b32 s10, 0xffff0000
	v_cmp_gt_u32_e64 s[4:5], 16, v2
	s_movk_i32 s11, 0xff00
	s_mov_b32 s9, 0xffff
	s_movk_i32 s8, 0xff
	s_waitcnt vmcnt(0)
	v_and_b32_e32 v6, 0xff, v1
	v_bfe_u32 v7, v1, 8, 8
	ds_bpermute_b32 v8, v3, v6
	ds_bpermute_b32 v9, v3, v7
	v_lshrrev_b32_e32 v4, 24, v1
	v_bfe_u32 v1, v1, 16, 8
	ds_bpermute_b32 v10, v3, v1
	ds_bpermute_b32 v11, v3, v4
	ds_bpermute_b32 v12, v3, v6 offset:4
	ds_bpermute_b32 v13, v3, v7 offset:4
	;; [unrolled: 1-line block ×12, first 2 shown]
	s_waitcnt lgkmcnt(14)
	v_perm_b32 v4, v9, v8, s2
	v_cndmask_b32_e32 v4, v8, v4, vcc
	s_waitcnt lgkmcnt(13)
	v_perm_b32 v8, v10, v4, s2
	v_cndmask_b32_e64 v4, v4, v8, s[0:1]
	s_waitcnt lgkmcnt(12)
	v_perm_b32 v8, v11, v4, s2
	v_cmp_eq_u32_e64 s[2:3], 3, v5
	s_waitcnt lgkmcnt(11)
	v_lshlrev_b16_e32 v9, 8, v12
	v_cndmask_b32_e64 v4, v4, v8, s[2:3]
	v_or_b32_sdwa v5, v4, v9 dst_sel:DWORD dst_unused:UNUSED_PAD src0_sel:BYTE_0 src1_sel:DWORD
	v_and_b32_e32 v5, 0xffff, v5
	v_and_or_b32 v5, v4, s10, v5
	s_waitcnt lgkmcnt(10)
	v_lshlrev_b16_e32 v12, 8, v13
	v_cndmask_b32_e64 v2, v4, v5, s[4:5]
	v_or_b32_sdwa v4, v2, v12 dst_sel:DWORD dst_unused:UNUSED_PAD src0_sel:BYTE_0 src1_sel:DWORD
	v_and_b32_e32 v4, 0xffff, v4
	v_and_or_b32 v4, v2, s10, v4
	s_waitcnt lgkmcnt(9)
	v_lshlrev_b16_e32 v13, 8, v14
	v_cndmask_b32_e32 v2, v2, v4, vcc
	v_or_b32_sdwa v4, v2, v13 dst_sel:DWORD dst_unused:UNUSED_PAD src0_sel:BYTE_0 src1_sel:DWORD
	v_and_b32_e32 v4, 0xffff, v4
	v_and_or_b32 v4, v2, s10, v4
	s_waitcnt lgkmcnt(8)
	v_lshlrev_b16_e32 v14, 8, v15
	v_cndmask_b32_e64 v2, v2, v4, s[0:1]
	v_or_b32_sdwa v4, v2, v14 dst_sel:DWORD dst_unused:UNUSED_PAD src0_sel:BYTE_0 src1_sel:DWORD
	v_and_b32_e32 v4, 0xffff, v4
	v_and_or_b32 v4, v2, s10, v4
	v_cndmask_b32_e64 v2, v2, v4, s[2:3]
	v_and_b32_sdwa v4, v2, s11 dst_sel:DWORD dst_unused:UNUSED_PAD src0_sel:WORD_1 src1_sel:DWORD
	s_waitcnt lgkmcnt(7)
	v_or_b32_sdwa v4, v16, v4 dst_sel:WORD_1 dst_unused:UNUSED_PAD src0_sel:BYTE_0 src1_sel:DWORD
	v_and_or_b32 v4, v2, s9, v4
	v_cndmask_b32_e64 v2, v2, v4, s[4:5]
	v_and_b32_sdwa v4, v2, s11 dst_sel:DWORD dst_unused:UNUSED_PAD src0_sel:WORD_1 src1_sel:DWORD
	s_waitcnt lgkmcnt(6)
	v_or_b32_sdwa v4, v17, v4 dst_sel:WORD_1 dst_unused:UNUSED_PAD src0_sel:BYTE_0 src1_sel:DWORD
	v_and_or_b32 v4, v2, s9, v4
	v_cndmask_b32_e32 v2, v2, v4, vcc
	v_and_b32_sdwa v4, v2, s11 dst_sel:DWORD dst_unused:UNUSED_PAD src0_sel:WORD_1 src1_sel:DWORD
	s_waitcnt lgkmcnt(5)
	v_or_b32_sdwa v4, v18, v4 dst_sel:WORD_1 dst_unused:UNUSED_PAD src0_sel:BYTE_0 src1_sel:DWORD
	v_and_or_b32 v4, v2, s9, v4
	v_cndmask_b32_e64 v2, v2, v4, s[0:1]
	v_and_b32_sdwa v4, v2, s11 dst_sel:DWORD dst_unused:UNUSED_PAD src0_sel:WORD_1 src1_sel:DWORD
	s_waitcnt lgkmcnt(4)
	v_or_b32_sdwa v4, v19, v4 dst_sel:WORD_1 dst_unused:UNUSED_PAD src0_sel:BYTE_0 src1_sel:DWORD
	v_and_or_b32 v4, v2, s9, v4
	v_cndmask_b32_e64 v2, v2, v4, s[2:3]
	s_waitcnt lgkmcnt(3)
	v_lshlrev_b16_e32 v6, 8, v6
	v_and_b32_sdwa v4, v2, s8 dst_sel:DWORD dst_unused:UNUSED_PAD src0_sel:WORD_1 src1_sel:DWORD
	v_or_b32_sdwa v4, v4, v6 dst_sel:WORD_1 dst_unused:UNUSED_PAD src0_sel:DWORD src1_sel:DWORD
	v_and_or_b32 v4, v2, s9, v4
	v_cndmask_b32_e64 v2, v2, v4, s[4:5]
	s_waitcnt lgkmcnt(2)
	v_lshlrev_b16_e32 v7, 8, v7
	v_and_b32_sdwa v4, v2, s8 dst_sel:DWORD dst_unused:UNUSED_PAD src0_sel:WORD_1 src1_sel:DWORD
	v_or_b32_sdwa v4, v4, v7 dst_sel:WORD_1 dst_unused:UNUSED_PAD src0_sel:DWORD src1_sel:DWORD
	v_and_or_b32 v4, v2, s9, v4
	v_cndmask_b32_e32 v2, v2, v4, vcc
	s_waitcnt lgkmcnt(1)
	v_lshlrev_b16_e32 v1, 8, v1
	v_and_b32_sdwa v4, v2, s8 dst_sel:DWORD dst_unused:UNUSED_PAD src0_sel:WORD_1 src1_sel:DWORD
	v_or_b32_sdwa v1, v4, v1 dst_sel:WORD_1 dst_unused:UNUSED_PAD src0_sel:DWORD src1_sel:DWORD
	v_and_or_b32 v1, v2, s9, v1
	v_cndmask_b32_e64 v1, v2, v1, s[0:1]
	v_and_b32_sdwa v2, v1, s8 dst_sel:DWORD dst_unused:UNUSED_PAD src0_sel:WORD_1 src1_sel:DWORD
	s_waitcnt lgkmcnt(0)
	v_lshlrev_b16_e32 v3, 8, v3
	v_or_b32_sdwa v2, v2, v3 dst_sel:WORD_1 dst_unused:UNUSED_PAD src0_sel:DWORD src1_sel:DWORD
	v_and_or_b32 v2, v1, s9, v2
	v_cndmask_b32_e64 v1, v1, v2, s[2:3]
	global_store_dword v0, v1, s[6:7]
	s_endpgm
	.section	.rodata,"a",@progbits
	.p2align	6, 0x0
	.amdhsa_kernel _Z20warp_exchange_kernelILj1024ELj4ELj64ELN6hipcub21WarpExchangeAlgorithmE1E18StripedToBlockedOpcEvPT4_S4_
		.amdhsa_group_segment_fixed_size 0
		.amdhsa_private_segment_fixed_size 0
		.amdhsa_kernarg_size 16
		.amdhsa_user_sgpr_count 6
		.amdhsa_user_sgpr_private_segment_buffer 1
		.amdhsa_user_sgpr_dispatch_ptr 0
		.amdhsa_user_sgpr_queue_ptr 0
		.amdhsa_user_sgpr_kernarg_segment_ptr 1
		.amdhsa_user_sgpr_dispatch_id 0
		.amdhsa_user_sgpr_flat_scratch_init 0
		.amdhsa_user_sgpr_kernarg_preload_length 0
		.amdhsa_user_sgpr_kernarg_preload_offset 0
		.amdhsa_user_sgpr_private_segment_size 0
		.amdhsa_uses_dynamic_stack 0
		.amdhsa_system_sgpr_private_segment_wavefront_offset 0
		.amdhsa_system_sgpr_workgroup_id_x 1
		.amdhsa_system_sgpr_workgroup_id_y 0
		.amdhsa_system_sgpr_workgroup_id_z 0
		.amdhsa_system_sgpr_workgroup_info 0
		.amdhsa_system_vgpr_workitem_id 0
		.amdhsa_next_free_vgpr 20
		.amdhsa_next_free_sgpr 12
		.amdhsa_accum_offset 20
		.amdhsa_reserve_vcc 1
		.amdhsa_reserve_flat_scratch 0
		.amdhsa_float_round_mode_32 0
		.amdhsa_float_round_mode_16_64 0
		.amdhsa_float_denorm_mode_32 3
		.amdhsa_float_denorm_mode_16_64 3
		.amdhsa_dx10_clamp 1
		.amdhsa_ieee_mode 1
		.amdhsa_fp16_overflow 0
		.amdhsa_tg_split 0
		.amdhsa_exception_fp_ieee_invalid_op 0
		.amdhsa_exception_fp_denorm_src 0
		.amdhsa_exception_fp_ieee_div_zero 0
		.amdhsa_exception_fp_ieee_overflow 0
		.amdhsa_exception_fp_ieee_underflow 0
		.amdhsa_exception_fp_ieee_inexact 0
		.amdhsa_exception_int_div_zero 0
	.end_amdhsa_kernel
	.section	.text._Z20warp_exchange_kernelILj1024ELj4ELj64ELN6hipcub21WarpExchangeAlgorithmE1E18StripedToBlockedOpcEvPT4_S4_,"axG",@progbits,_Z20warp_exchange_kernelILj1024ELj4ELj64ELN6hipcub21WarpExchangeAlgorithmE1E18StripedToBlockedOpcEvPT4_S4_,comdat
.Lfunc_end72:
	.size	_Z20warp_exchange_kernelILj1024ELj4ELj64ELN6hipcub21WarpExchangeAlgorithmE1E18StripedToBlockedOpcEvPT4_S4_, .Lfunc_end72-_Z20warp_exchange_kernelILj1024ELj4ELj64ELN6hipcub21WarpExchangeAlgorithmE1E18StripedToBlockedOpcEvPT4_S4_
                                        ; -- End function
	.section	.AMDGPU.csdata,"",@progbits
; Kernel info:
; codeLenInByte = 804
; NumSgprs: 16
; NumVgprs: 20
; NumAgprs: 0
; TotalNumVgprs: 20
; ScratchSize: 0
; MemoryBound: 0
; FloatMode: 240
; IeeeMode: 1
; LDSByteSize: 0 bytes/workgroup (compile time only)
; SGPRBlocks: 1
; VGPRBlocks: 2
; NumSGPRsForWavesPerEU: 16
; NumVGPRsForWavesPerEU: 20
; AccumOffset: 20
; Occupancy: 8
; WaveLimiterHint : 0
; COMPUTE_PGM_RSRC2:SCRATCH_EN: 0
; COMPUTE_PGM_RSRC2:USER_SGPR: 6
; COMPUTE_PGM_RSRC2:TRAP_HANDLER: 0
; COMPUTE_PGM_RSRC2:TGID_X_EN: 1
; COMPUTE_PGM_RSRC2:TGID_Y_EN: 0
; COMPUTE_PGM_RSRC2:TGID_Z_EN: 0
; COMPUTE_PGM_RSRC2:TIDIG_COMP_CNT: 0
; COMPUTE_PGM_RSRC3_GFX90A:ACCUM_OFFSET: 4
; COMPUTE_PGM_RSRC3_GFX90A:TG_SPLIT: 0
	.section	.text._Z20warp_exchange_kernelILj1024ELj1ELj64ELN6hipcub21WarpExchangeAlgorithmE1E18StripedToBlockedOpcEvPT4_S4_,"axG",@progbits,_Z20warp_exchange_kernelILj1024ELj1ELj64ELN6hipcub21WarpExchangeAlgorithmE1E18StripedToBlockedOpcEvPT4_S4_,comdat
	.protected	_Z20warp_exchange_kernelILj1024ELj1ELj64ELN6hipcub21WarpExchangeAlgorithmE1E18StripedToBlockedOpcEvPT4_S4_ ; -- Begin function _Z20warp_exchange_kernelILj1024ELj1ELj64ELN6hipcub21WarpExchangeAlgorithmE1E18StripedToBlockedOpcEvPT4_S4_
	.globl	_Z20warp_exchange_kernelILj1024ELj1ELj64ELN6hipcub21WarpExchangeAlgorithmE1E18StripedToBlockedOpcEvPT4_S4_
	.p2align	8
	.type	_Z20warp_exchange_kernelILj1024ELj1ELj64ELN6hipcub21WarpExchangeAlgorithmE1E18StripedToBlockedOpcEvPT4_S4_,@function
_Z20warp_exchange_kernelILj1024ELj1ELj64ELN6hipcub21WarpExchangeAlgorithmE1E18StripedToBlockedOpcEvPT4_S4_: ; @_Z20warp_exchange_kernelILj1024ELj1ELj64ELN6hipcub21WarpExchangeAlgorithmE1E18StripedToBlockedOpcEvPT4_S4_
; %bb.0:
	s_load_dwordx4 s[0:3], s[4:5], 0x0
	v_mbcnt_lo_u32_b32 v2, -1, 0
	v_mbcnt_hi_u32_b32 v2, -1, v2
	v_lshlrev_b32_e32 v2, 2, v2
	s_waitcnt lgkmcnt(0)
	global_load_ubyte v1, v0, s[0:1]
	s_waitcnt vmcnt(0)
	ds_bpermute_b32 v1, v2, v1
	s_waitcnt lgkmcnt(0)
	global_store_byte v0, v1, s[2:3]
	s_endpgm
	.section	.rodata,"a",@progbits
	.p2align	6, 0x0
	.amdhsa_kernel _Z20warp_exchange_kernelILj1024ELj1ELj64ELN6hipcub21WarpExchangeAlgorithmE1E18StripedToBlockedOpcEvPT4_S4_
		.amdhsa_group_segment_fixed_size 0
		.amdhsa_private_segment_fixed_size 0
		.amdhsa_kernarg_size 16
		.amdhsa_user_sgpr_count 6
		.amdhsa_user_sgpr_private_segment_buffer 1
		.amdhsa_user_sgpr_dispatch_ptr 0
		.amdhsa_user_sgpr_queue_ptr 0
		.amdhsa_user_sgpr_kernarg_segment_ptr 1
		.amdhsa_user_sgpr_dispatch_id 0
		.amdhsa_user_sgpr_flat_scratch_init 0
		.amdhsa_user_sgpr_kernarg_preload_length 0
		.amdhsa_user_sgpr_kernarg_preload_offset 0
		.amdhsa_user_sgpr_private_segment_size 0
		.amdhsa_uses_dynamic_stack 0
		.amdhsa_system_sgpr_private_segment_wavefront_offset 0
		.amdhsa_system_sgpr_workgroup_id_x 1
		.amdhsa_system_sgpr_workgroup_id_y 0
		.amdhsa_system_sgpr_workgroup_id_z 0
		.amdhsa_system_sgpr_workgroup_info 0
		.amdhsa_system_vgpr_workitem_id 0
		.amdhsa_next_free_vgpr 3
		.amdhsa_next_free_sgpr 6
		.amdhsa_accum_offset 4
		.amdhsa_reserve_vcc 0
		.amdhsa_reserve_flat_scratch 0
		.amdhsa_float_round_mode_32 0
		.amdhsa_float_round_mode_16_64 0
		.amdhsa_float_denorm_mode_32 3
		.amdhsa_float_denorm_mode_16_64 3
		.amdhsa_dx10_clamp 1
		.amdhsa_ieee_mode 1
		.amdhsa_fp16_overflow 0
		.amdhsa_tg_split 0
		.amdhsa_exception_fp_ieee_invalid_op 0
		.amdhsa_exception_fp_denorm_src 0
		.amdhsa_exception_fp_ieee_div_zero 0
		.amdhsa_exception_fp_ieee_overflow 0
		.amdhsa_exception_fp_ieee_underflow 0
		.amdhsa_exception_fp_ieee_inexact 0
		.amdhsa_exception_int_div_zero 0
	.end_amdhsa_kernel
	.section	.text._Z20warp_exchange_kernelILj1024ELj1ELj64ELN6hipcub21WarpExchangeAlgorithmE1E18StripedToBlockedOpcEvPT4_S4_,"axG",@progbits,_Z20warp_exchange_kernelILj1024ELj1ELj64ELN6hipcub21WarpExchangeAlgorithmE1E18StripedToBlockedOpcEvPT4_S4_,comdat
.Lfunc_end73:
	.size	_Z20warp_exchange_kernelILj1024ELj1ELj64ELN6hipcub21WarpExchangeAlgorithmE1E18StripedToBlockedOpcEvPT4_S4_, .Lfunc_end73-_Z20warp_exchange_kernelILj1024ELj1ELj64ELN6hipcub21WarpExchangeAlgorithmE1E18StripedToBlockedOpcEvPT4_S4_
                                        ; -- End function
	.section	.AMDGPU.csdata,"",@progbits
; Kernel info:
; codeLenInByte = 68
; NumSgprs: 10
; NumVgprs: 3
; NumAgprs: 0
; TotalNumVgprs: 3
; ScratchSize: 0
; MemoryBound: 0
; FloatMode: 240
; IeeeMode: 1
; LDSByteSize: 0 bytes/workgroup (compile time only)
; SGPRBlocks: 1
; VGPRBlocks: 0
; NumSGPRsForWavesPerEU: 10
; NumVGPRsForWavesPerEU: 3
; AccumOffset: 4
; Occupancy: 8
; WaveLimiterHint : 0
; COMPUTE_PGM_RSRC2:SCRATCH_EN: 0
; COMPUTE_PGM_RSRC2:USER_SGPR: 6
; COMPUTE_PGM_RSRC2:TRAP_HANDLER: 0
; COMPUTE_PGM_RSRC2:TGID_X_EN: 1
; COMPUTE_PGM_RSRC2:TGID_Y_EN: 0
; COMPUTE_PGM_RSRC2:TGID_Z_EN: 0
; COMPUTE_PGM_RSRC2:TIDIG_COMP_CNT: 0
; COMPUTE_PGM_RSRC3_GFX90A:ACCUM_OFFSET: 0
; COMPUTE_PGM_RSRC3_GFX90A:TG_SPLIT: 0
	.section	.text._Z20warp_exchange_kernelILj1024ELj4ELj32ELN6hipcub21WarpExchangeAlgorithmE1E18StripedToBlockedOpcEvPT4_S4_,"axG",@progbits,_Z20warp_exchange_kernelILj1024ELj4ELj32ELN6hipcub21WarpExchangeAlgorithmE1E18StripedToBlockedOpcEvPT4_S4_,comdat
	.protected	_Z20warp_exchange_kernelILj1024ELj4ELj32ELN6hipcub21WarpExchangeAlgorithmE1E18StripedToBlockedOpcEvPT4_S4_ ; -- Begin function _Z20warp_exchange_kernelILj1024ELj4ELj32ELN6hipcub21WarpExchangeAlgorithmE1E18StripedToBlockedOpcEvPT4_S4_
	.globl	_Z20warp_exchange_kernelILj1024ELj4ELj32ELN6hipcub21WarpExchangeAlgorithmE1E18StripedToBlockedOpcEvPT4_S4_
	.p2align	8
	.type	_Z20warp_exchange_kernelILj1024ELj4ELj32ELN6hipcub21WarpExchangeAlgorithmE1E18StripedToBlockedOpcEvPT4_S4_,@function
_Z20warp_exchange_kernelILj1024ELj4ELj32ELN6hipcub21WarpExchangeAlgorithmE1E18StripedToBlockedOpcEvPT4_S4_: ; @_Z20warp_exchange_kernelILj1024ELj4ELj32ELN6hipcub21WarpExchangeAlgorithmE1E18StripedToBlockedOpcEvPT4_S4_
; %bb.0:
	s_load_dwordx4 s[4:7], s[4:5], 0x0
	v_lshlrev_b32_e32 v0, 2, v0
	v_mbcnt_lo_u32_b32 v2, -1, 0
	v_mbcnt_hi_u32_b32 v2, -1, v2
	v_lshlrev_b32_e32 v4, 2, v2
	s_waitcnt lgkmcnt(0)
	global_load_dword v1, v0, s[4:5]
	v_and_b32_e32 v5, 0x60, v2
	v_and_or_b32 v4, v4, 28, v5
	v_lshlrev_b32_e32 v4, 2, v4
	s_mov_b32 s2, 0x3020104
	v_and_b32_e32 v3, 31, v2
	v_bfe_u32 v2, v2, 3, 2
	v_cmp_eq_u32_e32 vcc, 1, v2
	v_cmp_eq_u32_e64 s[0:1], 2, v2
	s_mov_b32 s10, 0xffff0000
	v_cmp_gt_u32_e64 s[4:5], 8, v3
	s_movk_i32 s11, 0xff00
	s_mov_b32 s9, 0xffff
	s_movk_i32 s8, 0xff
	s_waitcnt vmcnt(0)
	v_and_b32_e32 v6, 0xff, v1
	v_bfe_u32 v7, v1, 8, 8
	ds_bpermute_b32 v8, v4, v6
	ds_bpermute_b32 v9, v4, v7
	v_lshrrev_b32_e32 v5, 24, v1
	v_bfe_u32 v1, v1, 16, 8
	ds_bpermute_b32 v10, v4, v1
	ds_bpermute_b32 v11, v4, v5
	ds_bpermute_b32 v12, v4, v6 offset:4
	ds_bpermute_b32 v13, v4, v7 offset:4
	;; [unrolled: 1-line block ×12, first 2 shown]
	s_waitcnt lgkmcnt(14)
	v_perm_b32 v5, v9, v8, s2
	v_cndmask_b32_e32 v5, v8, v5, vcc
	s_waitcnt lgkmcnt(13)
	v_perm_b32 v8, v10, v5, s2
	v_cndmask_b32_e64 v5, v5, v8, s[0:1]
	s_waitcnt lgkmcnt(12)
	v_perm_b32 v8, v11, v5, s2
	v_cmp_eq_u32_e64 s[2:3], 3, v2
	s_waitcnt lgkmcnt(11)
	v_lshlrev_b16_e32 v9, 8, v12
	v_cndmask_b32_e64 v2, v5, v8, s[2:3]
	v_or_b32_sdwa v5, v2, v9 dst_sel:DWORD dst_unused:UNUSED_PAD src0_sel:BYTE_0 src1_sel:DWORD
	v_and_b32_e32 v5, 0xffff, v5
	v_and_or_b32 v5, v2, s10, v5
	s_waitcnt lgkmcnt(10)
	v_lshlrev_b16_e32 v12, 8, v13
	v_cndmask_b32_e64 v2, v2, v5, s[4:5]
	v_or_b32_sdwa v3, v2, v12 dst_sel:DWORD dst_unused:UNUSED_PAD src0_sel:BYTE_0 src1_sel:DWORD
	v_and_b32_e32 v3, 0xffff, v3
	v_and_or_b32 v3, v2, s10, v3
	s_waitcnt lgkmcnt(9)
	v_lshlrev_b16_e32 v13, 8, v14
	v_cndmask_b32_e32 v2, v2, v3, vcc
	v_or_b32_sdwa v3, v2, v13 dst_sel:DWORD dst_unused:UNUSED_PAD src0_sel:BYTE_0 src1_sel:DWORD
	v_and_b32_e32 v3, 0xffff, v3
	v_and_or_b32 v3, v2, s10, v3
	s_waitcnt lgkmcnt(8)
	v_lshlrev_b16_e32 v14, 8, v15
	v_cndmask_b32_e64 v2, v2, v3, s[0:1]
	v_or_b32_sdwa v3, v2, v14 dst_sel:DWORD dst_unused:UNUSED_PAD src0_sel:BYTE_0 src1_sel:DWORD
	v_and_b32_e32 v3, 0xffff, v3
	v_and_or_b32 v3, v2, s10, v3
	v_cndmask_b32_e64 v2, v2, v3, s[2:3]
	v_and_b32_sdwa v3, v2, s11 dst_sel:DWORD dst_unused:UNUSED_PAD src0_sel:WORD_1 src1_sel:DWORD
	s_waitcnt lgkmcnt(7)
	v_or_b32_sdwa v3, v16, v3 dst_sel:WORD_1 dst_unused:UNUSED_PAD src0_sel:BYTE_0 src1_sel:DWORD
	v_and_or_b32 v3, v2, s9, v3
	v_cndmask_b32_e64 v2, v2, v3, s[4:5]
	v_and_b32_sdwa v3, v2, s11 dst_sel:DWORD dst_unused:UNUSED_PAD src0_sel:WORD_1 src1_sel:DWORD
	s_waitcnt lgkmcnt(6)
	v_or_b32_sdwa v3, v17, v3 dst_sel:WORD_1 dst_unused:UNUSED_PAD src0_sel:BYTE_0 src1_sel:DWORD
	v_and_or_b32 v3, v2, s9, v3
	v_cndmask_b32_e32 v2, v2, v3, vcc
	v_and_b32_sdwa v3, v2, s11 dst_sel:DWORD dst_unused:UNUSED_PAD src0_sel:WORD_1 src1_sel:DWORD
	s_waitcnt lgkmcnt(5)
	v_or_b32_sdwa v3, v18, v3 dst_sel:WORD_1 dst_unused:UNUSED_PAD src0_sel:BYTE_0 src1_sel:DWORD
	v_and_or_b32 v3, v2, s9, v3
	v_cndmask_b32_e64 v2, v2, v3, s[0:1]
	v_and_b32_sdwa v3, v2, s11 dst_sel:DWORD dst_unused:UNUSED_PAD src0_sel:WORD_1 src1_sel:DWORD
	s_waitcnt lgkmcnt(4)
	v_or_b32_sdwa v3, v19, v3 dst_sel:WORD_1 dst_unused:UNUSED_PAD src0_sel:BYTE_0 src1_sel:DWORD
	v_and_or_b32 v3, v2, s9, v3
	v_cndmask_b32_e64 v2, v2, v3, s[2:3]
	s_waitcnt lgkmcnt(3)
	v_lshlrev_b16_e32 v6, 8, v6
	v_and_b32_sdwa v3, v2, s8 dst_sel:DWORD dst_unused:UNUSED_PAD src0_sel:WORD_1 src1_sel:DWORD
	v_or_b32_sdwa v3, v3, v6 dst_sel:WORD_1 dst_unused:UNUSED_PAD src0_sel:DWORD src1_sel:DWORD
	v_and_or_b32 v3, v2, s9, v3
	v_cndmask_b32_e64 v2, v2, v3, s[4:5]
	s_waitcnt lgkmcnt(2)
	v_lshlrev_b16_e32 v7, 8, v7
	v_and_b32_sdwa v3, v2, s8 dst_sel:DWORD dst_unused:UNUSED_PAD src0_sel:WORD_1 src1_sel:DWORD
	v_or_b32_sdwa v3, v3, v7 dst_sel:WORD_1 dst_unused:UNUSED_PAD src0_sel:DWORD src1_sel:DWORD
	v_and_or_b32 v3, v2, s9, v3
	v_cndmask_b32_e32 v2, v2, v3, vcc
	s_waitcnt lgkmcnt(1)
	v_lshlrev_b16_e32 v1, 8, v1
	v_and_b32_sdwa v3, v2, s8 dst_sel:DWORD dst_unused:UNUSED_PAD src0_sel:WORD_1 src1_sel:DWORD
	v_or_b32_sdwa v1, v3, v1 dst_sel:WORD_1 dst_unused:UNUSED_PAD src0_sel:DWORD src1_sel:DWORD
	v_and_or_b32 v1, v2, s9, v1
	v_cndmask_b32_e64 v1, v2, v1, s[0:1]
	v_and_b32_sdwa v2, v1, s8 dst_sel:DWORD dst_unused:UNUSED_PAD src0_sel:WORD_1 src1_sel:DWORD
	s_waitcnt lgkmcnt(0)
	v_lshlrev_b16_e32 v3, 8, v4
	v_or_b32_sdwa v2, v2, v3 dst_sel:WORD_1 dst_unused:UNUSED_PAD src0_sel:DWORD src1_sel:DWORD
	v_and_or_b32 v2, v1, s9, v2
	v_cndmask_b32_e64 v1, v1, v2, s[2:3]
	global_store_dword v0, v1, s[6:7]
	s_endpgm
	.section	.rodata,"a",@progbits
	.p2align	6, 0x0
	.amdhsa_kernel _Z20warp_exchange_kernelILj1024ELj4ELj32ELN6hipcub21WarpExchangeAlgorithmE1E18StripedToBlockedOpcEvPT4_S4_
		.amdhsa_group_segment_fixed_size 0
		.amdhsa_private_segment_fixed_size 0
		.amdhsa_kernarg_size 16
		.amdhsa_user_sgpr_count 6
		.amdhsa_user_sgpr_private_segment_buffer 1
		.amdhsa_user_sgpr_dispatch_ptr 0
		.amdhsa_user_sgpr_queue_ptr 0
		.amdhsa_user_sgpr_kernarg_segment_ptr 1
		.amdhsa_user_sgpr_dispatch_id 0
		.amdhsa_user_sgpr_flat_scratch_init 0
		.amdhsa_user_sgpr_kernarg_preload_length 0
		.amdhsa_user_sgpr_kernarg_preload_offset 0
		.amdhsa_user_sgpr_private_segment_size 0
		.amdhsa_uses_dynamic_stack 0
		.amdhsa_system_sgpr_private_segment_wavefront_offset 0
		.amdhsa_system_sgpr_workgroup_id_x 1
		.amdhsa_system_sgpr_workgroup_id_y 0
		.amdhsa_system_sgpr_workgroup_id_z 0
		.amdhsa_system_sgpr_workgroup_info 0
		.amdhsa_system_vgpr_workitem_id 0
		.amdhsa_next_free_vgpr 20
		.amdhsa_next_free_sgpr 12
		.amdhsa_accum_offset 20
		.amdhsa_reserve_vcc 1
		.amdhsa_reserve_flat_scratch 0
		.amdhsa_float_round_mode_32 0
		.amdhsa_float_round_mode_16_64 0
		.amdhsa_float_denorm_mode_32 3
		.amdhsa_float_denorm_mode_16_64 3
		.amdhsa_dx10_clamp 1
		.amdhsa_ieee_mode 1
		.amdhsa_fp16_overflow 0
		.amdhsa_tg_split 0
		.amdhsa_exception_fp_ieee_invalid_op 0
		.amdhsa_exception_fp_denorm_src 0
		.amdhsa_exception_fp_ieee_div_zero 0
		.amdhsa_exception_fp_ieee_overflow 0
		.amdhsa_exception_fp_ieee_underflow 0
		.amdhsa_exception_fp_ieee_inexact 0
		.amdhsa_exception_int_div_zero 0
	.end_amdhsa_kernel
	.section	.text._Z20warp_exchange_kernelILj1024ELj4ELj32ELN6hipcub21WarpExchangeAlgorithmE1E18StripedToBlockedOpcEvPT4_S4_,"axG",@progbits,_Z20warp_exchange_kernelILj1024ELj4ELj32ELN6hipcub21WarpExchangeAlgorithmE1E18StripedToBlockedOpcEvPT4_S4_,comdat
.Lfunc_end74:
	.size	_Z20warp_exchange_kernelILj1024ELj4ELj32ELN6hipcub21WarpExchangeAlgorithmE1E18StripedToBlockedOpcEvPT4_S4_, .Lfunc_end74-_Z20warp_exchange_kernelILj1024ELj4ELj32ELN6hipcub21WarpExchangeAlgorithmE1E18StripedToBlockedOpcEvPT4_S4_
                                        ; -- End function
	.section	.AMDGPU.csdata,"",@progbits
; Kernel info:
; codeLenInByte = 816
; NumSgprs: 16
; NumVgprs: 20
; NumAgprs: 0
; TotalNumVgprs: 20
; ScratchSize: 0
; MemoryBound: 0
; FloatMode: 240
; IeeeMode: 1
; LDSByteSize: 0 bytes/workgroup (compile time only)
; SGPRBlocks: 1
; VGPRBlocks: 2
; NumSGPRsForWavesPerEU: 16
; NumVGPRsForWavesPerEU: 20
; AccumOffset: 20
; Occupancy: 8
; WaveLimiterHint : 0
; COMPUTE_PGM_RSRC2:SCRATCH_EN: 0
; COMPUTE_PGM_RSRC2:USER_SGPR: 6
; COMPUTE_PGM_RSRC2:TRAP_HANDLER: 0
; COMPUTE_PGM_RSRC2:TGID_X_EN: 1
; COMPUTE_PGM_RSRC2:TGID_Y_EN: 0
; COMPUTE_PGM_RSRC2:TGID_Z_EN: 0
; COMPUTE_PGM_RSRC2:TIDIG_COMP_CNT: 0
; COMPUTE_PGM_RSRC3_GFX90A:ACCUM_OFFSET: 4
; COMPUTE_PGM_RSRC3_GFX90A:TG_SPLIT: 0
	.section	.text._Z20warp_exchange_kernelILj1024ELj1ELj32ELN6hipcub21WarpExchangeAlgorithmE1E18StripedToBlockedOpcEvPT4_S4_,"axG",@progbits,_Z20warp_exchange_kernelILj1024ELj1ELj32ELN6hipcub21WarpExchangeAlgorithmE1E18StripedToBlockedOpcEvPT4_S4_,comdat
	.protected	_Z20warp_exchange_kernelILj1024ELj1ELj32ELN6hipcub21WarpExchangeAlgorithmE1E18StripedToBlockedOpcEvPT4_S4_ ; -- Begin function _Z20warp_exchange_kernelILj1024ELj1ELj32ELN6hipcub21WarpExchangeAlgorithmE1E18StripedToBlockedOpcEvPT4_S4_
	.globl	_Z20warp_exchange_kernelILj1024ELj1ELj32ELN6hipcub21WarpExchangeAlgorithmE1E18StripedToBlockedOpcEvPT4_S4_
	.p2align	8
	.type	_Z20warp_exchange_kernelILj1024ELj1ELj32ELN6hipcub21WarpExchangeAlgorithmE1E18StripedToBlockedOpcEvPT4_S4_,@function
_Z20warp_exchange_kernelILj1024ELj1ELj32ELN6hipcub21WarpExchangeAlgorithmE1E18StripedToBlockedOpcEvPT4_S4_: ; @_Z20warp_exchange_kernelILj1024ELj1ELj32ELN6hipcub21WarpExchangeAlgorithmE1E18StripedToBlockedOpcEvPT4_S4_
; %bb.0:
	s_load_dwordx4 s[0:3], s[4:5], 0x0
	v_mbcnt_lo_u32_b32 v2, -1, 0
	v_mbcnt_hi_u32_b32 v2, -1, v2
	v_lshlrev_b32_e32 v2, 2, v2
	s_waitcnt lgkmcnt(0)
	global_load_ubyte v1, v0, s[0:1]
	s_waitcnt vmcnt(0)
	ds_bpermute_b32 v1, v2, v1
	s_waitcnt lgkmcnt(0)
	global_store_byte v0, v1, s[2:3]
	s_endpgm
	.section	.rodata,"a",@progbits
	.p2align	6, 0x0
	.amdhsa_kernel _Z20warp_exchange_kernelILj1024ELj1ELj32ELN6hipcub21WarpExchangeAlgorithmE1E18StripedToBlockedOpcEvPT4_S4_
		.amdhsa_group_segment_fixed_size 0
		.amdhsa_private_segment_fixed_size 0
		.amdhsa_kernarg_size 16
		.amdhsa_user_sgpr_count 6
		.amdhsa_user_sgpr_private_segment_buffer 1
		.amdhsa_user_sgpr_dispatch_ptr 0
		.amdhsa_user_sgpr_queue_ptr 0
		.amdhsa_user_sgpr_kernarg_segment_ptr 1
		.amdhsa_user_sgpr_dispatch_id 0
		.amdhsa_user_sgpr_flat_scratch_init 0
		.amdhsa_user_sgpr_kernarg_preload_length 0
		.amdhsa_user_sgpr_kernarg_preload_offset 0
		.amdhsa_user_sgpr_private_segment_size 0
		.amdhsa_uses_dynamic_stack 0
		.amdhsa_system_sgpr_private_segment_wavefront_offset 0
		.amdhsa_system_sgpr_workgroup_id_x 1
		.amdhsa_system_sgpr_workgroup_id_y 0
		.amdhsa_system_sgpr_workgroup_id_z 0
		.amdhsa_system_sgpr_workgroup_info 0
		.amdhsa_system_vgpr_workitem_id 0
		.amdhsa_next_free_vgpr 3
		.amdhsa_next_free_sgpr 6
		.amdhsa_accum_offset 4
		.amdhsa_reserve_vcc 0
		.amdhsa_reserve_flat_scratch 0
		.amdhsa_float_round_mode_32 0
		.amdhsa_float_round_mode_16_64 0
		.amdhsa_float_denorm_mode_32 3
		.amdhsa_float_denorm_mode_16_64 3
		.amdhsa_dx10_clamp 1
		.amdhsa_ieee_mode 1
		.amdhsa_fp16_overflow 0
		.amdhsa_tg_split 0
		.amdhsa_exception_fp_ieee_invalid_op 0
		.amdhsa_exception_fp_denorm_src 0
		.amdhsa_exception_fp_ieee_div_zero 0
		.amdhsa_exception_fp_ieee_overflow 0
		.amdhsa_exception_fp_ieee_underflow 0
		.amdhsa_exception_fp_ieee_inexact 0
		.amdhsa_exception_int_div_zero 0
	.end_amdhsa_kernel
	.section	.text._Z20warp_exchange_kernelILj1024ELj1ELj32ELN6hipcub21WarpExchangeAlgorithmE1E18StripedToBlockedOpcEvPT4_S4_,"axG",@progbits,_Z20warp_exchange_kernelILj1024ELj1ELj32ELN6hipcub21WarpExchangeAlgorithmE1E18StripedToBlockedOpcEvPT4_S4_,comdat
.Lfunc_end75:
	.size	_Z20warp_exchange_kernelILj1024ELj1ELj32ELN6hipcub21WarpExchangeAlgorithmE1E18StripedToBlockedOpcEvPT4_S4_, .Lfunc_end75-_Z20warp_exchange_kernelILj1024ELj1ELj32ELN6hipcub21WarpExchangeAlgorithmE1E18StripedToBlockedOpcEvPT4_S4_
                                        ; -- End function
	.section	.AMDGPU.csdata,"",@progbits
; Kernel info:
; codeLenInByte = 68
; NumSgprs: 10
; NumVgprs: 3
; NumAgprs: 0
; TotalNumVgprs: 3
; ScratchSize: 0
; MemoryBound: 0
; FloatMode: 240
; IeeeMode: 1
; LDSByteSize: 0 bytes/workgroup (compile time only)
; SGPRBlocks: 1
; VGPRBlocks: 0
; NumSGPRsForWavesPerEU: 10
; NumVGPRsForWavesPerEU: 3
; AccumOffset: 4
; Occupancy: 8
; WaveLimiterHint : 0
; COMPUTE_PGM_RSRC2:SCRATCH_EN: 0
; COMPUTE_PGM_RSRC2:USER_SGPR: 6
; COMPUTE_PGM_RSRC2:TRAP_HANDLER: 0
; COMPUTE_PGM_RSRC2:TGID_X_EN: 1
; COMPUTE_PGM_RSRC2:TGID_Y_EN: 0
; COMPUTE_PGM_RSRC2:TGID_Z_EN: 0
; COMPUTE_PGM_RSRC2:TIDIG_COMP_CNT: 0
; COMPUTE_PGM_RSRC3_GFX90A:ACCUM_OFFSET: 0
; COMPUTE_PGM_RSRC3_GFX90A:TG_SPLIT: 0
	.section	.text._Z20warp_exchange_kernelILj1024ELj4ELj16ELN6hipcub21WarpExchangeAlgorithmE1E18StripedToBlockedOpcEvPT4_S4_,"axG",@progbits,_Z20warp_exchange_kernelILj1024ELj4ELj16ELN6hipcub21WarpExchangeAlgorithmE1E18StripedToBlockedOpcEvPT4_S4_,comdat
	.protected	_Z20warp_exchange_kernelILj1024ELj4ELj16ELN6hipcub21WarpExchangeAlgorithmE1E18StripedToBlockedOpcEvPT4_S4_ ; -- Begin function _Z20warp_exchange_kernelILj1024ELj4ELj16ELN6hipcub21WarpExchangeAlgorithmE1E18StripedToBlockedOpcEvPT4_S4_
	.globl	_Z20warp_exchange_kernelILj1024ELj4ELj16ELN6hipcub21WarpExchangeAlgorithmE1E18StripedToBlockedOpcEvPT4_S4_
	.p2align	8
	.type	_Z20warp_exchange_kernelILj1024ELj4ELj16ELN6hipcub21WarpExchangeAlgorithmE1E18StripedToBlockedOpcEvPT4_S4_,@function
_Z20warp_exchange_kernelILj1024ELj4ELj16ELN6hipcub21WarpExchangeAlgorithmE1E18StripedToBlockedOpcEvPT4_S4_: ; @_Z20warp_exchange_kernelILj1024ELj4ELj16ELN6hipcub21WarpExchangeAlgorithmE1E18StripedToBlockedOpcEvPT4_S4_
; %bb.0:
	s_load_dwordx4 s[4:7], s[4:5], 0x0
	v_lshlrev_b32_e32 v0, 2, v0
	v_mbcnt_lo_u32_b32 v2, -1, 0
	v_mbcnt_hi_u32_b32 v2, -1, v2
	v_lshlrev_b32_e32 v4, 2, v2
	s_waitcnt lgkmcnt(0)
	global_load_dword v1, v0, s[4:5]
	v_and_b32_e32 v5, 0x70, v2
	v_and_or_b32 v4, v4, 12, v5
	v_lshlrev_b32_e32 v4, 2, v4
	s_mov_b32 s2, 0x3020104
	v_and_b32_e32 v3, 15, v2
	v_bfe_u32 v2, v2, 2, 2
	v_cmp_eq_u32_e32 vcc, 1, v2
	v_cmp_eq_u32_e64 s[0:1], 2, v2
	s_mov_b32 s10, 0xffff0000
	v_cmp_gt_u32_e64 s[4:5], 4, v3
	s_movk_i32 s11, 0xff00
	s_mov_b32 s9, 0xffff
	s_movk_i32 s8, 0xff
	s_waitcnt vmcnt(0)
	v_and_b32_e32 v6, 0xff, v1
	v_bfe_u32 v7, v1, 8, 8
	ds_bpermute_b32 v8, v4, v6
	ds_bpermute_b32 v9, v4, v7
	v_lshrrev_b32_e32 v5, 24, v1
	v_bfe_u32 v1, v1, 16, 8
	ds_bpermute_b32 v10, v4, v1
	ds_bpermute_b32 v11, v4, v5
	ds_bpermute_b32 v12, v4, v6 offset:4
	ds_bpermute_b32 v13, v4, v7 offset:4
	;; [unrolled: 1-line block ×12, first 2 shown]
	s_waitcnt lgkmcnt(14)
	v_perm_b32 v5, v9, v8, s2
	v_cndmask_b32_e32 v5, v8, v5, vcc
	s_waitcnt lgkmcnt(13)
	v_perm_b32 v8, v10, v5, s2
	v_cndmask_b32_e64 v5, v5, v8, s[0:1]
	s_waitcnt lgkmcnt(12)
	v_perm_b32 v8, v11, v5, s2
	v_cmp_eq_u32_e64 s[2:3], 3, v2
	s_waitcnt lgkmcnt(11)
	v_lshlrev_b16_e32 v9, 8, v12
	v_cndmask_b32_e64 v2, v5, v8, s[2:3]
	v_or_b32_sdwa v5, v2, v9 dst_sel:DWORD dst_unused:UNUSED_PAD src0_sel:BYTE_0 src1_sel:DWORD
	v_and_b32_e32 v5, 0xffff, v5
	v_and_or_b32 v5, v2, s10, v5
	s_waitcnt lgkmcnt(10)
	v_lshlrev_b16_e32 v12, 8, v13
	v_cndmask_b32_e64 v2, v2, v5, s[4:5]
	v_or_b32_sdwa v3, v2, v12 dst_sel:DWORD dst_unused:UNUSED_PAD src0_sel:BYTE_0 src1_sel:DWORD
	v_and_b32_e32 v3, 0xffff, v3
	v_and_or_b32 v3, v2, s10, v3
	s_waitcnt lgkmcnt(9)
	v_lshlrev_b16_e32 v13, 8, v14
	v_cndmask_b32_e32 v2, v2, v3, vcc
	v_or_b32_sdwa v3, v2, v13 dst_sel:DWORD dst_unused:UNUSED_PAD src0_sel:BYTE_0 src1_sel:DWORD
	v_and_b32_e32 v3, 0xffff, v3
	v_and_or_b32 v3, v2, s10, v3
	s_waitcnt lgkmcnt(8)
	v_lshlrev_b16_e32 v14, 8, v15
	v_cndmask_b32_e64 v2, v2, v3, s[0:1]
	v_or_b32_sdwa v3, v2, v14 dst_sel:DWORD dst_unused:UNUSED_PAD src0_sel:BYTE_0 src1_sel:DWORD
	v_and_b32_e32 v3, 0xffff, v3
	v_and_or_b32 v3, v2, s10, v3
	v_cndmask_b32_e64 v2, v2, v3, s[2:3]
	v_and_b32_sdwa v3, v2, s11 dst_sel:DWORD dst_unused:UNUSED_PAD src0_sel:WORD_1 src1_sel:DWORD
	s_waitcnt lgkmcnt(7)
	v_or_b32_sdwa v3, v16, v3 dst_sel:WORD_1 dst_unused:UNUSED_PAD src0_sel:BYTE_0 src1_sel:DWORD
	v_and_or_b32 v3, v2, s9, v3
	v_cndmask_b32_e64 v2, v2, v3, s[4:5]
	v_and_b32_sdwa v3, v2, s11 dst_sel:DWORD dst_unused:UNUSED_PAD src0_sel:WORD_1 src1_sel:DWORD
	s_waitcnt lgkmcnt(6)
	v_or_b32_sdwa v3, v17, v3 dst_sel:WORD_1 dst_unused:UNUSED_PAD src0_sel:BYTE_0 src1_sel:DWORD
	v_and_or_b32 v3, v2, s9, v3
	v_cndmask_b32_e32 v2, v2, v3, vcc
	v_and_b32_sdwa v3, v2, s11 dst_sel:DWORD dst_unused:UNUSED_PAD src0_sel:WORD_1 src1_sel:DWORD
	s_waitcnt lgkmcnt(5)
	v_or_b32_sdwa v3, v18, v3 dst_sel:WORD_1 dst_unused:UNUSED_PAD src0_sel:BYTE_0 src1_sel:DWORD
	v_and_or_b32 v3, v2, s9, v3
	v_cndmask_b32_e64 v2, v2, v3, s[0:1]
	v_and_b32_sdwa v3, v2, s11 dst_sel:DWORD dst_unused:UNUSED_PAD src0_sel:WORD_1 src1_sel:DWORD
	s_waitcnt lgkmcnt(4)
	v_or_b32_sdwa v3, v19, v3 dst_sel:WORD_1 dst_unused:UNUSED_PAD src0_sel:BYTE_0 src1_sel:DWORD
	v_and_or_b32 v3, v2, s9, v3
	v_cndmask_b32_e64 v2, v2, v3, s[2:3]
	s_waitcnt lgkmcnt(3)
	v_lshlrev_b16_e32 v6, 8, v6
	v_and_b32_sdwa v3, v2, s8 dst_sel:DWORD dst_unused:UNUSED_PAD src0_sel:WORD_1 src1_sel:DWORD
	v_or_b32_sdwa v3, v3, v6 dst_sel:WORD_1 dst_unused:UNUSED_PAD src0_sel:DWORD src1_sel:DWORD
	v_and_or_b32 v3, v2, s9, v3
	v_cndmask_b32_e64 v2, v2, v3, s[4:5]
	s_waitcnt lgkmcnt(2)
	v_lshlrev_b16_e32 v7, 8, v7
	v_and_b32_sdwa v3, v2, s8 dst_sel:DWORD dst_unused:UNUSED_PAD src0_sel:WORD_1 src1_sel:DWORD
	v_or_b32_sdwa v3, v3, v7 dst_sel:WORD_1 dst_unused:UNUSED_PAD src0_sel:DWORD src1_sel:DWORD
	v_and_or_b32 v3, v2, s9, v3
	v_cndmask_b32_e32 v2, v2, v3, vcc
	s_waitcnt lgkmcnt(1)
	v_lshlrev_b16_e32 v1, 8, v1
	v_and_b32_sdwa v3, v2, s8 dst_sel:DWORD dst_unused:UNUSED_PAD src0_sel:WORD_1 src1_sel:DWORD
	v_or_b32_sdwa v1, v3, v1 dst_sel:WORD_1 dst_unused:UNUSED_PAD src0_sel:DWORD src1_sel:DWORD
	v_and_or_b32 v1, v2, s9, v1
	v_cndmask_b32_e64 v1, v2, v1, s[0:1]
	v_and_b32_sdwa v2, v1, s8 dst_sel:DWORD dst_unused:UNUSED_PAD src0_sel:WORD_1 src1_sel:DWORD
	s_waitcnt lgkmcnt(0)
	v_lshlrev_b16_e32 v3, 8, v4
	v_or_b32_sdwa v2, v2, v3 dst_sel:WORD_1 dst_unused:UNUSED_PAD src0_sel:DWORD src1_sel:DWORD
	v_and_or_b32 v2, v1, s9, v2
	v_cndmask_b32_e64 v1, v1, v2, s[2:3]
	global_store_dword v0, v1, s[6:7]
	s_endpgm
	.section	.rodata,"a",@progbits
	.p2align	6, 0x0
	.amdhsa_kernel _Z20warp_exchange_kernelILj1024ELj4ELj16ELN6hipcub21WarpExchangeAlgorithmE1E18StripedToBlockedOpcEvPT4_S4_
		.amdhsa_group_segment_fixed_size 0
		.amdhsa_private_segment_fixed_size 0
		.amdhsa_kernarg_size 16
		.amdhsa_user_sgpr_count 6
		.amdhsa_user_sgpr_private_segment_buffer 1
		.amdhsa_user_sgpr_dispatch_ptr 0
		.amdhsa_user_sgpr_queue_ptr 0
		.amdhsa_user_sgpr_kernarg_segment_ptr 1
		.amdhsa_user_sgpr_dispatch_id 0
		.amdhsa_user_sgpr_flat_scratch_init 0
		.amdhsa_user_sgpr_kernarg_preload_length 0
		.amdhsa_user_sgpr_kernarg_preload_offset 0
		.amdhsa_user_sgpr_private_segment_size 0
		.amdhsa_uses_dynamic_stack 0
		.amdhsa_system_sgpr_private_segment_wavefront_offset 0
		.amdhsa_system_sgpr_workgroup_id_x 1
		.amdhsa_system_sgpr_workgroup_id_y 0
		.amdhsa_system_sgpr_workgroup_id_z 0
		.amdhsa_system_sgpr_workgroup_info 0
		.amdhsa_system_vgpr_workitem_id 0
		.amdhsa_next_free_vgpr 20
		.amdhsa_next_free_sgpr 12
		.amdhsa_accum_offset 20
		.amdhsa_reserve_vcc 1
		.amdhsa_reserve_flat_scratch 0
		.amdhsa_float_round_mode_32 0
		.amdhsa_float_round_mode_16_64 0
		.amdhsa_float_denorm_mode_32 3
		.amdhsa_float_denorm_mode_16_64 3
		.amdhsa_dx10_clamp 1
		.amdhsa_ieee_mode 1
		.amdhsa_fp16_overflow 0
		.amdhsa_tg_split 0
		.amdhsa_exception_fp_ieee_invalid_op 0
		.amdhsa_exception_fp_denorm_src 0
		.amdhsa_exception_fp_ieee_div_zero 0
		.amdhsa_exception_fp_ieee_overflow 0
		.amdhsa_exception_fp_ieee_underflow 0
		.amdhsa_exception_fp_ieee_inexact 0
		.amdhsa_exception_int_div_zero 0
	.end_amdhsa_kernel
	.section	.text._Z20warp_exchange_kernelILj1024ELj4ELj16ELN6hipcub21WarpExchangeAlgorithmE1E18StripedToBlockedOpcEvPT4_S4_,"axG",@progbits,_Z20warp_exchange_kernelILj1024ELj4ELj16ELN6hipcub21WarpExchangeAlgorithmE1E18StripedToBlockedOpcEvPT4_S4_,comdat
.Lfunc_end76:
	.size	_Z20warp_exchange_kernelILj1024ELj4ELj16ELN6hipcub21WarpExchangeAlgorithmE1E18StripedToBlockedOpcEvPT4_S4_, .Lfunc_end76-_Z20warp_exchange_kernelILj1024ELj4ELj16ELN6hipcub21WarpExchangeAlgorithmE1E18StripedToBlockedOpcEvPT4_S4_
                                        ; -- End function
	.section	.AMDGPU.csdata,"",@progbits
; Kernel info:
; codeLenInByte = 816
; NumSgprs: 16
; NumVgprs: 20
; NumAgprs: 0
; TotalNumVgprs: 20
; ScratchSize: 0
; MemoryBound: 0
; FloatMode: 240
; IeeeMode: 1
; LDSByteSize: 0 bytes/workgroup (compile time only)
; SGPRBlocks: 1
; VGPRBlocks: 2
; NumSGPRsForWavesPerEU: 16
; NumVGPRsForWavesPerEU: 20
; AccumOffset: 20
; Occupancy: 8
; WaveLimiterHint : 0
; COMPUTE_PGM_RSRC2:SCRATCH_EN: 0
; COMPUTE_PGM_RSRC2:USER_SGPR: 6
; COMPUTE_PGM_RSRC2:TRAP_HANDLER: 0
; COMPUTE_PGM_RSRC2:TGID_X_EN: 1
; COMPUTE_PGM_RSRC2:TGID_Y_EN: 0
; COMPUTE_PGM_RSRC2:TGID_Z_EN: 0
; COMPUTE_PGM_RSRC2:TIDIG_COMP_CNT: 0
; COMPUTE_PGM_RSRC3_GFX90A:ACCUM_OFFSET: 4
; COMPUTE_PGM_RSRC3_GFX90A:TG_SPLIT: 0
	.section	.text._Z20warp_exchange_kernelILj1024ELj1ELj16ELN6hipcub21WarpExchangeAlgorithmE1E18StripedToBlockedOpcEvPT4_S4_,"axG",@progbits,_Z20warp_exchange_kernelILj1024ELj1ELj16ELN6hipcub21WarpExchangeAlgorithmE1E18StripedToBlockedOpcEvPT4_S4_,comdat
	.protected	_Z20warp_exchange_kernelILj1024ELj1ELj16ELN6hipcub21WarpExchangeAlgorithmE1E18StripedToBlockedOpcEvPT4_S4_ ; -- Begin function _Z20warp_exchange_kernelILj1024ELj1ELj16ELN6hipcub21WarpExchangeAlgorithmE1E18StripedToBlockedOpcEvPT4_S4_
	.globl	_Z20warp_exchange_kernelILj1024ELj1ELj16ELN6hipcub21WarpExchangeAlgorithmE1E18StripedToBlockedOpcEvPT4_S4_
	.p2align	8
	.type	_Z20warp_exchange_kernelILj1024ELj1ELj16ELN6hipcub21WarpExchangeAlgorithmE1E18StripedToBlockedOpcEvPT4_S4_,@function
_Z20warp_exchange_kernelILj1024ELj1ELj16ELN6hipcub21WarpExchangeAlgorithmE1E18StripedToBlockedOpcEvPT4_S4_: ; @_Z20warp_exchange_kernelILj1024ELj1ELj16ELN6hipcub21WarpExchangeAlgorithmE1E18StripedToBlockedOpcEvPT4_S4_
; %bb.0:
	s_load_dwordx4 s[0:3], s[4:5], 0x0
	v_mbcnt_lo_u32_b32 v2, -1, 0
	v_mbcnt_hi_u32_b32 v2, -1, v2
	v_lshlrev_b32_e32 v2, 2, v2
	s_waitcnt lgkmcnt(0)
	global_load_ubyte v1, v0, s[0:1]
	s_waitcnt vmcnt(0)
	ds_bpermute_b32 v1, v2, v1
	s_waitcnt lgkmcnt(0)
	global_store_byte v0, v1, s[2:3]
	s_endpgm
	.section	.rodata,"a",@progbits
	.p2align	6, 0x0
	.amdhsa_kernel _Z20warp_exchange_kernelILj1024ELj1ELj16ELN6hipcub21WarpExchangeAlgorithmE1E18StripedToBlockedOpcEvPT4_S4_
		.amdhsa_group_segment_fixed_size 0
		.amdhsa_private_segment_fixed_size 0
		.amdhsa_kernarg_size 16
		.amdhsa_user_sgpr_count 6
		.amdhsa_user_sgpr_private_segment_buffer 1
		.amdhsa_user_sgpr_dispatch_ptr 0
		.amdhsa_user_sgpr_queue_ptr 0
		.amdhsa_user_sgpr_kernarg_segment_ptr 1
		.amdhsa_user_sgpr_dispatch_id 0
		.amdhsa_user_sgpr_flat_scratch_init 0
		.amdhsa_user_sgpr_kernarg_preload_length 0
		.amdhsa_user_sgpr_kernarg_preload_offset 0
		.amdhsa_user_sgpr_private_segment_size 0
		.amdhsa_uses_dynamic_stack 0
		.amdhsa_system_sgpr_private_segment_wavefront_offset 0
		.amdhsa_system_sgpr_workgroup_id_x 1
		.amdhsa_system_sgpr_workgroup_id_y 0
		.amdhsa_system_sgpr_workgroup_id_z 0
		.amdhsa_system_sgpr_workgroup_info 0
		.amdhsa_system_vgpr_workitem_id 0
		.amdhsa_next_free_vgpr 3
		.amdhsa_next_free_sgpr 6
		.amdhsa_accum_offset 4
		.amdhsa_reserve_vcc 0
		.amdhsa_reserve_flat_scratch 0
		.amdhsa_float_round_mode_32 0
		.amdhsa_float_round_mode_16_64 0
		.amdhsa_float_denorm_mode_32 3
		.amdhsa_float_denorm_mode_16_64 3
		.amdhsa_dx10_clamp 1
		.amdhsa_ieee_mode 1
		.amdhsa_fp16_overflow 0
		.amdhsa_tg_split 0
		.amdhsa_exception_fp_ieee_invalid_op 0
		.amdhsa_exception_fp_denorm_src 0
		.amdhsa_exception_fp_ieee_div_zero 0
		.amdhsa_exception_fp_ieee_overflow 0
		.amdhsa_exception_fp_ieee_underflow 0
		.amdhsa_exception_fp_ieee_inexact 0
		.amdhsa_exception_int_div_zero 0
	.end_amdhsa_kernel
	.section	.text._Z20warp_exchange_kernelILj1024ELj1ELj16ELN6hipcub21WarpExchangeAlgorithmE1E18StripedToBlockedOpcEvPT4_S4_,"axG",@progbits,_Z20warp_exchange_kernelILj1024ELj1ELj16ELN6hipcub21WarpExchangeAlgorithmE1E18StripedToBlockedOpcEvPT4_S4_,comdat
.Lfunc_end77:
	.size	_Z20warp_exchange_kernelILj1024ELj1ELj16ELN6hipcub21WarpExchangeAlgorithmE1E18StripedToBlockedOpcEvPT4_S4_, .Lfunc_end77-_Z20warp_exchange_kernelILj1024ELj1ELj16ELN6hipcub21WarpExchangeAlgorithmE1E18StripedToBlockedOpcEvPT4_S4_
                                        ; -- End function
	.section	.AMDGPU.csdata,"",@progbits
; Kernel info:
; codeLenInByte = 68
; NumSgprs: 10
; NumVgprs: 3
; NumAgprs: 0
; TotalNumVgprs: 3
; ScratchSize: 0
; MemoryBound: 0
; FloatMode: 240
; IeeeMode: 1
; LDSByteSize: 0 bytes/workgroup (compile time only)
; SGPRBlocks: 1
; VGPRBlocks: 0
; NumSGPRsForWavesPerEU: 10
; NumVGPRsForWavesPerEU: 3
; AccumOffset: 4
; Occupancy: 8
; WaveLimiterHint : 0
; COMPUTE_PGM_RSRC2:SCRATCH_EN: 0
; COMPUTE_PGM_RSRC2:USER_SGPR: 6
; COMPUTE_PGM_RSRC2:TRAP_HANDLER: 0
; COMPUTE_PGM_RSRC2:TGID_X_EN: 1
; COMPUTE_PGM_RSRC2:TGID_Y_EN: 0
; COMPUTE_PGM_RSRC2:TGID_Z_EN: 0
; COMPUTE_PGM_RSRC2:TIDIG_COMP_CNT: 0
; COMPUTE_PGM_RSRC3_GFX90A:ACCUM_OFFSET: 0
; COMPUTE_PGM_RSRC3_GFX90A:TG_SPLIT: 0
	.section	.text._Z20warp_exchange_kernelILj1024ELj4ELj8ELN6hipcub21WarpExchangeAlgorithmE1E18StripedToBlockedOpcEvPT4_S4_,"axG",@progbits,_Z20warp_exchange_kernelILj1024ELj4ELj8ELN6hipcub21WarpExchangeAlgorithmE1E18StripedToBlockedOpcEvPT4_S4_,comdat
	.protected	_Z20warp_exchange_kernelILj1024ELj4ELj8ELN6hipcub21WarpExchangeAlgorithmE1E18StripedToBlockedOpcEvPT4_S4_ ; -- Begin function _Z20warp_exchange_kernelILj1024ELj4ELj8ELN6hipcub21WarpExchangeAlgorithmE1E18StripedToBlockedOpcEvPT4_S4_
	.globl	_Z20warp_exchange_kernelILj1024ELj4ELj8ELN6hipcub21WarpExchangeAlgorithmE1E18StripedToBlockedOpcEvPT4_S4_
	.p2align	8
	.type	_Z20warp_exchange_kernelILj1024ELj4ELj8ELN6hipcub21WarpExchangeAlgorithmE1E18StripedToBlockedOpcEvPT4_S4_,@function
_Z20warp_exchange_kernelILj1024ELj4ELj8ELN6hipcub21WarpExchangeAlgorithmE1E18StripedToBlockedOpcEvPT4_S4_: ; @_Z20warp_exchange_kernelILj1024ELj4ELj8ELN6hipcub21WarpExchangeAlgorithmE1E18StripedToBlockedOpcEvPT4_S4_
; %bb.0:
	s_load_dwordx4 s[4:7], s[4:5], 0x0
	v_lshlrev_b32_e32 v0, 2, v0
	v_mbcnt_lo_u32_b32 v2, -1, 0
	v_mbcnt_hi_u32_b32 v2, -1, v2
	v_lshlrev_b32_e32 v4, 2, v2
	s_waitcnt lgkmcnt(0)
	global_load_dword v1, v0, s[4:5]
	v_and_b32_e32 v5, 0x78, v2
	v_and_or_b32 v4, v4, 4, v5
	v_lshlrev_b32_e32 v4, 2, v4
	s_mov_b32 s2, 0x3020104
	v_and_b32_e32 v3, 7, v2
	v_bfe_u32 v2, v2, 1, 2
	v_cmp_eq_u32_e32 vcc, 1, v2
	v_cmp_eq_u32_e64 s[0:1], 2, v2
	s_mov_b32 s10, 0xffff0000
	v_cmp_gt_u32_e64 s[4:5], 2, v3
	s_movk_i32 s11, 0xff00
	s_mov_b32 s9, 0xffff
	s_movk_i32 s8, 0xff
	s_waitcnt vmcnt(0)
	v_and_b32_e32 v6, 0xff, v1
	v_bfe_u32 v7, v1, 8, 8
	ds_bpermute_b32 v8, v4, v6
	ds_bpermute_b32 v9, v4, v7
	v_lshrrev_b32_e32 v5, 24, v1
	v_bfe_u32 v1, v1, 16, 8
	ds_bpermute_b32 v10, v4, v1
	ds_bpermute_b32 v11, v4, v5
	ds_bpermute_b32 v12, v4, v6 offset:4
	ds_bpermute_b32 v13, v4, v7 offset:4
	;; [unrolled: 1-line block ×12, first 2 shown]
	s_waitcnt lgkmcnt(14)
	v_perm_b32 v5, v9, v8, s2
	v_cndmask_b32_e32 v5, v8, v5, vcc
	s_waitcnt lgkmcnt(13)
	v_perm_b32 v8, v10, v5, s2
	v_cndmask_b32_e64 v5, v5, v8, s[0:1]
	s_waitcnt lgkmcnt(12)
	v_perm_b32 v8, v11, v5, s2
	v_cmp_eq_u32_e64 s[2:3], 3, v2
	s_waitcnt lgkmcnt(11)
	v_lshlrev_b16_e32 v9, 8, v12
	v_cndmask_b32_e64 v2, v5, v8, s[2:3]
	v_or_b32_sdwa v5, v2, v9 dst_sel:DWORD dst_unused:UNUSED_PAD src0_sel:BYTE_0 src1_sel:DWORD
	v_and_b32_e32 v5, 0xffff, v5
	v_and_or_b32 v5, v2, s10, v5
	s_waitcnt lgkmcnt(10)
	v_lshlrev_b16_e32 v12, 8, v13
	v_cndmask_b32_e64 v2, v2, v5, s[4:5]
	v_or_b32_sdwa v3, v2, v12 dst_sel:DWORD dst_unused:UNUSED_PAD src0_sel:BYTE_0 src1_sel:DWORD
	v_and_b32_e32 v3, 0xffff, v3
	v_and_or_b32 v3, v2, s10, v3
	s_waitcnt lgkmcnt(9)
	v_lshlrev_b16_e32 v13, 8, v14
	v_cndmask_b32_e32 v2, v2, v3, vcc
	v_or_b32_sdwa v3, v2, v13 dst_sel:DWORD dst_unused:UNUSED_PAD src0_sel:BYTE_0 src1_sel:DWORD
	v_and_b32_e32 v3, 0xffff, v3
	v_and_or_b32 v3, v2, s10, v3
	s_waitcnt lgkmcnt(8)
	v_lshlrev_b16_e32 v14, 8, v15
	v_cndmask_b32_e64 v2, v2, v3, s[0:1]
	v_or_b32_sdwa v3, v2, v14 dst_sel:DWORD dst_unused:UNUSED_PAD src0_sel:BYTE_0 src1_sel:DWORD
	v_and_b32_e32 v3, 0xffff, v3
	v_and_or_b32 v3, v2, s10, v3
	v_cndmask_b32_e64 v2, v2, v3, s[2:3]
	v_and_b32_sdwa v3, v2, s11 dst_sel:DWORD dst_unused:UNUSED_PAD src0_sel:WORD_1 src1_sel:DWORD
	s_waitcnt lgkmcnt(7)
	v_or_b32_sdwa v3, v16, v3 dst_sel:WORD_1 dst_unused:UNUSED_PAD src0_sel:BYTE_0 src1_sel:DWORD
	v_and_or_b32 v3, v2, s9, v3
	v_cndmask_b32_e64 v2, v2, v3, s[4:5]
	v_and_b32_sdwa v3, v2, s11 dst_sel:DWORD dst_unused:UNUSED_PAD src0_sel:WORD_1 src1_sel:DWORD
	s_waitcnt lgkmcnt(6)
	v_or_b32_sdwa v3, v17, v3 dst_sel:WORD_1 dst_unused:UNUSED_PAD src0_sel:BYTE_0 src1_sel:DWORD
	v_and_or_b32 v3, v2, s9, v3
	v_cndmask_b32_e32 v2, v2, v3, vcc
	v_and_b32_sdwa v3, v2, s11 dst_sel:DWORD dst_unused:UNUSED_PAD src0_sel:WORD_1 src1_sel:DWORD
	s_waitcnt lgkmcnt(5)
	v_or_b32_sdwa v3, v18, v3 dst_sel:WORD_1 dst_unused:UNUSED_PAD src0_sel:BYTE_0 src1_sel:DWORD
	v_and_or_b32 v3, v2, s9, v3
	v_cndmask_b32_e64 v2, v2, v3, s[0:1]
	v_and_b32_sdwa v3, v2, s11 dst_sel:DWORD dst_unused:UNUSED_PAD src0_sel:WORD_1 src1_sel:DWORD
	s_waitcnt lgkmcnt(4)
	v_or_b32_sdwa v3, v19, v3 dst_sel:WORD_1 dst_unused:UNUSED_PAD src0_sel:BYTE_0 src1_sel:DWORD
	v_and_or_b32 v3, v2, s9, v3
	v_cndmask_b32_e64 v2, v2, v3, s[2:3]
	s_waitcnt lgkmcnt(3)
	v_lshlrev_b16_e32 v6, 8, v6
	v_and_b32_sdwa v3, v2, s8 dst_sel:DWORD dst_unused:UNUSED_PAD src0_sel:WORD_1 src1_sel:DWORD
	v_or_b32_sdwa v3, v3, v6 dst_sel:WORD_1 dst_unused:UNUSED_PAD src0_sel:DWORD src1_sel:DWORD
	v_and_or_b32 v3, v2, s9, v3
	v_cndmask_b32_e64 v2, v2, v3, s[4:5]
	s_waitcnt lgkmcnt(2)
	v_lshlrev_b16_e32 v7, 8, v7
	v_and_b32_sdwa v3, v2, s8 dst_sel:DWORD dst_unused:UNUSED_PAD src0_sel:WORD_1 src1_sel:DWORD
	v_or_b32_sdwa v3, v3, v7 dst_sel:WORD_1 dst_unused:UNUSED_PAD src0_sel:DWORD src1_sel:DWORD
	v_and_or_b32 v3, v2, s9, v3
	v_cndmask_b32_e32 v2, v2, v3, vcc
	s_waitcnt lgkmcnt(1)
	v_lshlrev_b16_e32 v1, 8, v1
	v_and_b32_sdwa v3, v2, s8 dst_sel:DWORD dst_unused:UNUSED_PAD src0_sel:WORD_1 src1_sel:DWORD
	v_or_b32_sdwa v1, v3, v1 dst_sel:WORD_1 dst_unused:UNUSED_PAD src0_sel:DWORD src1_sel:DWORD
	v_and_or_b32 v1, v2, s9, v1
	v_cndmask_b32_e64 v1, v2, v1, s[0:1]
	v_and_b32_sdwa v2, v1, s8 dst_sel:DWORD dst_unused:UNUSED_PAD src0_sel:WORD_1 src1_sel:DWORD
	s_waitcnt lgkmcnt(0)
	v_lshlrev_b16_e32 v3, 8, v4
	v_or_b32_sdwa v2, v2, v3 dst_sel:WORD_1 dst_unused:UNUSED_PAD src0_sel:DWORD src1_sel:DWORD
	v_and_or_b32 v2, v1, s9, v2
	v_cndmask_b32_e64 v1, v1, v2, s[2:3]
	global_store_dword v0, v1, s[6:7]
	s_endpgm
	.section	.rodata,"a",@progbits
	.p2align	6, 0x0
	.amdhsa_kernel _Z20warp_exchange_kernelILj1024ELj4ELj8ELN6hipcub21WarpExchangeAlgorithmE1E18StripedToBlockedOpcEvPT4_S4_
		.amdhsa_group_segment_fixed_size 0
		.amdhsa_private_segment_fixed_size 0
		.amdhsa_kernarg_size 16
		.amdhsa_user_sgpr_count 6
		.amdhsa_user_sgpr_private_segment_buffer 1
		.amdhsa_user_sgpr_dispatch_ptr 0
		.amdhsa_user_sgpr_queue_ptr 0
		.amdhsa_user_sgpr_kernarg_segment_ptr 1
		.amdhsa_user_sgpr_dispatch_id 0
		.amdhsa_user_sgpr_flat_scratch_init 0
		.amdhsa_user_sgpr_kernarg_preload_length 0
		.amdhsa_user_sgpr_kernarg_preload_offset 0
		.amdhsa_user_sgpr_private_segment_size 0
		.amdhsa_uses_dynamic_stack 0
		.amdhsa_system_sgpr_private_segment_wavefront_offset 0
		.amdhsa_system_sgpr_workgroup_id_x 1
		.amdhsa_system_sgpr_workgroup_id_y 0
		.amdhsa_system_sgpr_workgroup_id_z 0
		.amdhsa_system_sgpr_workgroup_info 0
		.amdhsa_system_vgpr_workitem_id 0
		.amdhsa_next_free_vgpr 20
		.amdhsa_next_free_sgpr 12
		.amdhsa_accum_offset 20
		.amdhsa_reserve_vcc 1
		.amdhsa_reserve_flat_scratch 0
		.amdhsa_float_round_mode_32 0
		.amdhsa_float_round_mode_16_64 0
		.amdhsa_float_denorm_mode_32 3
		.amdhsa_float_denorm_mode_16_64 3
		.amdhsa_dx10_clamp 1
		.amdhsa_ieee_mode 1
		.amdhsa_fp16_overflow 0
		.amdhsa_tg_split 0
		.amdhsa_exception_fp_ieee_invalid_op 0
		.amdhsa_exception_fp_denorm_src 0
		.amdhsa_exception_fp_ieee_div_zero 0
		.amdhsa_exception_fp_ieee_overflow 0
		.amdhsa_exception_fp_ieee_underflow 0
		.amdhsa_exception_fp_ieee_inexact 0
		.amdhsa_exception_int_div_zero 0
	.end_amdhsa_kernel
	.section	.text._Z20warp_exchange_kernelILj1024ELj4ELj8ELN6hipcub21WarpExchangeAlgorithmE1E18StripedToBlockedOpcEvPT4_S4_,"axG",@progbits,_Z20warp_exchange_kernelILj1024ELj4ELj8ELN6hipcub21WarpExchangeAlgorithmE1E18StripedToBlockedOpcEvPT4_S4_,comdat
.Lfunc_end78:
	.size	_Z20warp_exchange_kernelILj1024ELj4ELj8ELN6hipcub21WarpExchangeAlgorithmE1E18StripedToBlockedOpcEvPT4_S4_, .Lfunc_end78-_Z20warp_exchange_kernelILj1024ELj4ELj8ELN6hipcub21WarpExchangeAlgorithmE1E18StripedToBlockedOpcEvPT4_S4_
                                        ; -- End function
	.section	.AMDGPU.csdata,"",@progbits
; Kernel info:
; codeLenInByte = 816
; NumSgprs: 16
; NumVgprs: 20
; NumAgprs: 0
; TotalNumVgprs: 20
; ScratchSize: 0
; MemoryBound: 0
; FloatMode: 240
; IeeeMode: 1
; LDSByteSize: 0 bytes/workgroup (compile time only)
; SGPRBlocks: 1
; VGPRBlocks: 2
; NumSGPRsForWavesPerEU: 16
; NumVGPRsForWavesPerEU: 20
; AccumOffset: 20
; Occupancy: 8
; WaveLimiterHint : 0
; COMPUTE_PGM_RSRC2:SCRATCH_EN: 0
; COMPUTE_PGM_RSRC2:USER_SGPR: 6
; COMPUTE_PGM_RSRC2:TRAP_HANDLER: 0
; COMPUTE_PGM_RSRC2:TGID_X_EN: 1
; COMPUTE_PGM_RSRC2:TGID_Y_EN: 0
; COMPUTE_PGM_RSRC2:TGID_Z_EN: 0
; COMPUTE_PGM_RSRC2:TIDIG_COMP_CNT: 0
; COMPUTE_PGM_RSRC3_GFX90A:ACCUM_OFFSET: 4
; COMPUTE_PGM_RSRC3_GFX90A:TG_SPLIT: 0
	.section	.text._Z20warp_exchange_kernelILj1024ELj1ELj8ELN6hipcub21WarpExchangeAlgorithmE1E18StripedToBlockedOpcEvPT4_S4_,"axG",@progbits,_Z20warp_exchange_kernelILj1024ELj1ELj8ELN6hipcub21WarpExchangeAlgorithmE1E18StripedToBlockedOpcEvPT4_S4_,comdat
	.protected	_Z20warp_exchange_kernelILj1024ELj1ELj8ELN6hipcub21WarpExchangeAlgorithmE1E18StripedToBlockedOpcEvPT4_S4_ ; -- Begin function _Z20warp_exchange_kernelILj1024ELj1ELj8ELN6hipcub21WarpExchangeAlgorithmE1E18StripedToBlockedOpcEvPT4_S4_
	.globl	_Z20warp_exchange_kernelILj1024ELj1ELj8ELN6hipcub21WarpExchangeAlgorithmE1E18StripedToBlockedOpcEvPT4_S4_
	.p2align	8
	.type	_Z20warp_exchange_kernelILj1024ELj1ELj8ELN6hipcub21WarpExchangeAlgorithmE1E18StripedToBlockedOpcEvPT4_S4_,@function
_Z20warp_exchange_kernelILj1024ELj1ELj8ELN6hipcub21WarpExchangeAlgorithmE1E18StripedToBlockedOpcEvPT4_S4_: ; @_Z20warp_exchange_kernelILj1024ELj1ELj8ELN6hipcub21WarpExchangeAlgorithmE1E18StripedToBlockedOpcEvPT4_S4_
; %bb.0:
	s_load_dwordx4 s[0:3], s[4:5], 0x0
	v_mbcnt_lo_u32_b32 v2, -1, 0
	v_mbcnt_hi_u32_b32 v2, -1, v2
	v_lshlrev_b32_e32 v2, 2, v2
	s_waitcnt lgkmcnt(0)
	global_load_ubyte v1, v0, s[0:1]
	s_waitcnt vmcnt(0)
	ds_bpermute_b32 v1, v2, v1
	s_waitcnt lgkmcnt(0)
	global_store_byte v0, v1, s[2:3]
	s_endpgm
	.section	.rodata,"a",@progbits
	.p2align	6, 0x0
	.amdhsa_kernel _Z20warp_exchange_kernelILj1024ELj1ELj8ELN6hipcub21WarpExchangeAlgorithmE1E18StripedToBlockedOpcEvPT4_S4_
		.amdhsa_group_segment_fixed_size 0
		.amdhsa_private_segment_fixed_size 0
		.amdhsa_kernarg_size 16
		.amdhsa_user_sgpr_count 6
		.amdhsa_user_sgpr_private_segment_buffer 1
		.amdhsa_user_sgpr_dispatch_ptr 0
		.amdhsa_user_sgpr_queue_ptr 0
		.amdhsa_user_sgpr_kernarg_segment_ptr 1
		.amdhsa_user_sgpr_dispatch_id 0
		.amdhsa_user_sgpr_flat_scratch_init 0
		.amdhsa_user_sgpr_kernarg_preload_length 0
		.amdhsa_user_sgpr_kernarg_preload_offset 0
		.amdhsa_user_sgpr_private_segment_size 0
		.amdhsa_uses_dynamic_stack 0
		.amdhsa_system_sgpr_private_segment_wavefront_offset 0
		.amdhsa_system_sgpr_workgroup_id_x 1
		.amdhsa_system_sgpr_workgroup_id_y 0
		.amdhsa_system_sgpr_workgroup_id_z 0
		.amdhsa_system_sgpr_workgroup_info 0
		.amdhsa_system_vgpr_workitem_id 0
		.amdhsa_next_free_vgpr 3
		.amdhsa_next_free_sgpr 6
		.amdhsa_accum_offset 4
		.amdhsa_reserve_vcc 0
		.amdhsa_reserve_flat_scratch 0
		.amdhsa_float_round_mode_32 0
		.amdhsa_float_round_mode_16_64 0
		.amdhsa_float_denorm_mode_32 3
		.amdhsa_float_denorm_mode_16_64 3
		.amdhsa_dx10_clamp 1
		.amdhsa_ieee_mode 1
		.amdhsa_fp16_overflow 0
		.amdhsa_tg_split 0
		.amdhsa_exception_fp_ieee_invalid_op 0
		.amdhsa_exception_fp_denorm_src 0
		.amdhsa_exception_fp_ieee_div_zero 0
		.amdhsa_exception_fp_ieee_overflow 0
		.amdhsa_exception_fp_ieee_underflow 0
		.amdhsa_exception_fp_ieee_inexact 0
		.amdhsa_exception_int_div_zero 0
	.end_amdhsa_kernel
	.section	.text._Z20warp_exchange_kernelILj1024ELj1ELj8ELN6hipcub21WarpExchangeAlgorithmE1E18StripedToBlockedOpcEvPT4_S4_,"axG",@progbits,_Z20warp_exchange_kernelILj1024ELj1ELj8ELN6hipcub21WarpExchangeAlgorithmE1E18StripedToBlockedOpcEvPT4_S4_,comdat
.Lfunc_end79:
	.size	_Z20warp_exchange_kernelILj1024ELj1ELj8ELN6hipcub21WarpExchangeAlgorithmE1E18StripedToBlockedOpcEvPT4_S4_, .Lfunc_end79-_Z20warp_exchange_kernelILj1024ELj1ELj8ELN6hipcub21WarpExchangeAlgorithmE1E18StripedToBlockedOpcEvPT4_S4_
                                        ; -- End function
	.section	.AMDGPU.csdata,"",@progbits
; Kernel info:
; codeLenInByte = 68
; NumSgprs: 10
; NumVgprs: 3
; NumAgprs: 0
; TotalNumVgprs: 3
; ScratchSize: 0
; MemoryBound: 0
; FloatMode: 240
; IeeeMode: 1
; LDSByteSize: 0 bytes/workgroup (compile time only)
; SGPRBlocks: 1
; VGPRBlocks: 0
; NumSGPRsForWavesPerEU: 10
; NumVGPRsForWavesPerEU: 3
; AccumOffset: 4
; Occupancy: 8
; WaveLimiterHint : 0
; COMPUTE_PGM_RSRC2:SCRATCH_EN: 0
; COMPUTE_PGM_RSRC2:USER_SGPR: 6
; COMPUTE_PGM_RSRC2:TRAP_HANDLER: 0
; COMPUTE_PGM_RSRC2:TGID_X_EN: 1
; COMPUTE_PGM_RSRC2:TGID_Y_EN: 0
; COMPUTE_PGM_RSRC2:TGID_Z_EN: 0
; COMPUTE_PGM_RSRC2:TIDIG_COMP_CNT: 0
; COMPUTE_PGM_RSRC3_GFX90A:ACCUM_OFFSET: 0
; COMPUTE_PGM_RSRC3_GFX90A:TG_SPLIT: 0
	.section	.text._Z20warp_exchange_kernelILj1024ELj5ELj64ELN6hipcub21WarpExchangeAlgorithmE0E18BlockedToStripedOp6__halfEvPT4_S5_,"axG",@progbits,_Z20warp_exchange_kernelILj1024ELj5ELj64ELN6hipcub21WarpExchangeAlgorithmE0E18BlockedToStripedOp6__halfEvPT4_S5_,comdat
	.protected	_Z20warp_exchange_kernelILj1024ELj5ELj64ELN6hipcub21WarpExchangeAlgorithmE0E18BlockedToStripedOp6__halfEvPT4_S5_ ; -- Begin function _Z20warp_exchange_kernelILj1024ELj5ELj64ELN6hipcub21WarpExchangeAlgorithmE0E18BlockedToStripedOp6__halfEvPT4_S5_
	.globl	_Z20warp_exchange_kernelILj1024ELj5ELj64ELN6hipcub21WarpExchangeAlgorithmE0E18BlockedToStripedOp6__halfEvPT4_S5_
	.p2align	8
	.type	_Z20warp_exchange_kernelILj1024ELj5ELj64ELN6hipcub21WarpExchangeAlgorithmE0E18BlockedToStripedOp6__halfEvPT4_S5_,@function
_Z20warp_exchange_kernelILj1024ELj5ELj64ELN6hipcub21WarpExchangeAlgorithmE0E18BlockedToStripedOp6__halfEvPT4_S5_: ; @_Z20warp_exchange_kernelILj1024ELj5ELj64ELN6hipcub21WarpExchangeAlgorithmE0E18BlockedToStripedOp6__halfEvPT4_S5_
; %bb.0:
	s_load_dwordx4 s[0:3], s[4:5], 0x0
	v_mul_u32_u24_e32 v1, 5, v0
	v_lshlrev_b32_e32 v4, 1, v1
	v_mbcnt_lo_u32_b32 v5, -1, 0
	v_mbcnt_hi_u32_b32 v5, -1, v5
	s_waitcnt lgkmcnt(0)
	global_load_dwordx2 v[2:3], v4, s[0:1]
	global_load_ushort v1, v4, s[0:1] offset:8
	s_movk_i32 s0, 0x280
	v_lshrrev_b32_e32 v0, 6, v0
	v_mul_u32_u24_e32 v6, 10, v5
	v_lshlrev_b32_e32 v5, 1, v5
	v_mad_u32_u24 v6, v0, s0, v6
	v_mad_u32_u24 v0, v0, s0, v5
	s_mov_b32 s0, 0x5040100
	s_waitcnt vmcnt(1)
	ds_write_b64 v6, v[2:3]
	s_waitcnt vmcnt(0)
	ds_write_b16 v6, v1 offset:8
	; wave barrier
	ds_read_u16 v1, v0 offset:256
	ds_read_u16 v2, v0 offset:384
	ds_read_u16 v3, v0
	ds_read_u16 v5, v0 offset:128
	ds_read_u16 v6, v0 offset:512
	s_waitcnt lgkmcnt(3)
	v_perm_b32 v1, v2, v1, s0
	s_waitcnt lgkmcnt(1)
	v_perm_b32 v0, v5, v3, s0
	s_waitcnt lgkmcnt(0)
	global_store_short v4, v6, s[2:3] offset:8
	global_store_dwordx2 v4, v[0:1], s[2:3]
	s_endpgm
	.section	.rodata,"a",@progbits
	.p2align	6, 0x0
	.amdhsa_kernel _Z20warp_exchange_kernelILj1024ELj5ELj64ELN6hipcub21WarpExchangeAlgorithmE0E18BlockedToStripedOp6__halfEvPT4_S5_
		.amdhsa_group_segment_fixed_size 10240
		.amdhsa_private_segment_fixed_size 0
		.amdhsa_kernarg_size 16
		.amdhsa_user_sgpr_count 6
		.amdhsa_user_sgpr_private_segment_buffer 1
		.amdhsa_user_sgpr_dispatch_ptr 0
		.amdhsa_user_sgpr_queue_ptr 0
		.amdhsa_user_sgpr_kernarg_segment_ptr 1
		.amdhsa_user_sgpr_dispatch_id 0
		.amdhsa_user_sgpr_flat_scratch_init 0
		.amdhsa_user_sgpr_kernarg_preload_length 0
		.amdhsa_user_sgpr_kernarg_preload_offset 0
		.amdhsa_user_sgpr_private_segment_size 0
		.amdhsa_uses_dynamic_stack 0
		.amdhsa_system_sgpr_private_segment_wavefront_offset 0
		.amdhsa_system_sgpr_workgroup_id_x 1
		.amdhsa_system_sgpr_workgroup_id_y 0
		.amdhsa_system_sgpr_workgroup_id_z 0
		.amdhsa_system_sgpr_workgroup_info 0
		.amdhsa_system_vgpr_workitem_id 0
		.amdhsa_next_free_vgpr 7
		.amdhsa_next_free_sgpr 6
		.amdhsa_accum_offset 8
		.amdhsa_reserve_vcc 0
		.amdhsa_reserve_flat_scratch 0
		.amdhsa_float_round_mode_32 0
		.amdhsa_float_round_mode_16_64 0
		.amdhsa_float_denorm_mode_32 3
		.amdhsa_float_denorm_mode_16_64 3
		.amdhsa_dx10_clamp 1
		.amdhsa_ieee_mode 1
		.amdhsa_fp16_overflow 0
		.amdhsa_tg_split 0
		.amdhsa_exception_fp_ieee_invalid_op 0
		.amdhsa_exception_fp_denorm_src 0
		.amdhsa_exception_fp_ieee_div_zero 0
		.amdhsa_exception_fp_ieee_overflow 0
		.amdhsa_exception_fp_ieee_underflow 0
		.amdhsa_exception_fp_ieee_inexact 0
		.amdhsa_exception_int_div_zero 0
	.end_amdhsa_kernel
	.section	.text._Z20warp_exchange_kernelILj1024ELj5ELj64ELN6hipcub21WarpExchangeAlgorithmE0E18BlockedToStripedOp6__halfEvPT4_S5_,"axG",@progbits,_Z20warp_exchange_kernelILj1024ELj5ELj64ELN6hipcub21WarpExchangeAlgorithmE0E18BlockedToStripedOp6__halfEvPT4_S5_,comdat
.Lfunc_end80:
	.size	_Z20warp_exchange_kernelILj1024ELj5ELj64ELN6hipcub21WarpExchangeAlgorithmE0E18BlockedToStripedOp6__halfEvPT4_S5_, .Lfunc_end80-_Z20warp_exchange_kernelILj1024ELj5ELj64ELN6hipcub21WarpExchangeAlgorithmE0E18BlockedToStripedOp6__halfEvPT4_S5_
                                        ; -- End function
	.section	.AMDGPU.csdata,"",@progbits
; Kernel info:
; codeLenInByte = 204
; NumSgprs: 10
; NumVgprs: 7
; NumAgprs: 0
; TotalNumVgprs: 7
; ScratchSize: 0
; MemoryBound: 0
; FloatMode: 240
; IeeeMode: 1
; LDSByteSize: 10240 bytes/workgroup (compile time only)
; SGPRBlocks: 1
; VGPRBlocks: 0
; NumSGPRsForWavesPerEU: 10
; NumVGPRsForWavesPerEU: 7
; AccumOffset: 8
; Occupancy: 8
; WaveLimiterHint : 0
; COMPUTE_PGM_RSRC2:SCRATCH_EN: 0
; COMPUTE_PGM_RSRC2:USER_SGPR: 6
; COMPUTE_PGM_RSRC2:TRAP_HANDLER: 0
; COMPUTE_PGM_RSRC2:TGID_X_EN: 1
; COMPUTE_PGM_RSRC2:TGID_Y_EN: 0
; COMPUTE_PGM_RSRC2:TGID_Z_EN: 0
; COMPUTE_PGM_RSRC2:TIDIG_COMP_CNT: 0
; COMPUTE_PGM_RSRC3_GFX90A:ACCUM_OFFSET: 1
; COMPUTE_PGM_RSRC3_GFX90A:TG_SPLIT: 0
	.section	.text._Z20warp_exchange_kernelILj1024ELj4ELj64ELN6hipcub21WarpExchangeAlgorithmE0E18BlockedToStripedOp6__halfEvPT4_S5_,"axG",@progbits,_Z20warp_exchange_kernelILj1024ELj4ELj64ELN6hipcub21WarpExchangeAlgorithmE0E18BlockedToStripedOp6__halfEvPT4_S5_,comdat
	.protected	_Z20warp_exchange_kernelILj1024ELj4ELj64ELN6hipcub21WarpExchangeAlgorithmE0E18BlockedToStripedOp6__halfEvPT4_S5_ ; -- Begin function _Z20warp_exchange_kernelILj1024ELj4ELj64ELN6hipcub21WarpExchangeAlgorithmE0E18BlockedToStripedOp6__halfEvPT4_S5_
	.globl	_Z20warp_exchange_kernelILj1024ELj4ELj64ELN6hipcub21WarpExchangeAlgorithmE0E18BlockedToStripedOp6__halfEvPT4_S5_
	.p2align	8
	.type	_Z20warp_exchange_kernelILj1024ELj4ELj64ELN6hipcub21WarpExchangeAlgorithmE0E18BlockedToStripedOp6__halfEvPT4_S5_,@function
_Z20warp_exchange_kernelILj1024ELj4ELj64ELN6hipcub21WarpExchangeAlgorithmE0E18BlockedToStripedOp6__halfEvPT4_S5_: ; @_Z20warp_exchange_kernelILj1024ELj4ELj64ELN6hipcub21WarpExchangeAlgorithmE0E18BlockedToStripedOp6__halfEvPT4_S5_
; %bb.0:
	s_load_dwordx4 s[0:3], s[4:5], 0x0
	v_lshlrev_b32_e32 v2, 3, v0
	v_mbcnt_lo_u32_b32 v3, -1, 0
	v_mbcnt_hi_u32_b32 v3, -1, v3
	v_and_b32_e32 v4, 0x1e00, v2
	s_waitcnt lgkmcnt(0)
	global_load_dwordx2 v[0:1], v2, s[0:1]
	v_lshl_add_u32 v5, v3, 3, v4
	v_lshl_or_b32 v3, v3, 1, v4
	s_mov_b32 s0, 0x5040100
	s_waitcnt vmcnt(0)
	ds_write_b64 v5, v[0:1]
	; wave barrier
	ds_read_u16 v0, v3 offset:256
	ds_read_u16 v1, v3 offset:384
	ds_read_u16 v4, v3
	ds_read_u16 v3, v3 offset:128
	s_waitcnt lgkmcnt(2)
	v_perm_b32 v1, v1, v0, s0
	s_waitcnt lgkmcnt(0)
	v_perm_b32 v0, v3, v4, s0
	global_store_dwordx2 v2, v[0:1], s[2:3]
	s_endpgm
	.section	.rodata,"a",@progbits
	.p2align	6, 0x0
	.amdhsa_kernel _Z20warp_exchange_kernelILj1024ELj4ELj64ELN6hipcub21WarpExchangeAlgorithmE0E18BlockedToStripedOp6__halfEvPT4_S5_
		.amdhsa_group_segment_fixed_size 8192
		.amdhsa_private_segment_fixed_size 0
		.amdhsa_kernarg_size 16
		.amdhsa_user_sgpr_count 6
		.amdhsa_user_sgpr_private_segment_buffer 1
		.amdhsa_user_sgpr_dispatch_ptr 0
		.amdhsa_user_sgpr_queue_ptr 0
		.amdhsa_user_sgpr_kernarg_segment_ptr 1
		.amdhsa_user_sgpr_dispatch_id 0
		.amdhsa_user_sgpr_flat_scratch_init 0
		.amdhsa_user_sgpr_kernarg_preload_length 0
		.amdhsa_user_sgpr_kernarg_preload_offset 0
		.amdhsa_user_sgpr_private_segment_size 0
		.amdhsa_uses_dynamic_stack 0
		.amdhsa_system_sgpr_private_segment_wavefront_offset 0
		.amdhsa_system_sgpr_workgroup_id_x 1
		.amdhsa_system_sgpr_workgroup_id_y 0
		.amdhsa_system_sgpr_workgroup_id_z 0
		.amdhsa_system_sgpr_workgroup_info 0
		.amdhsa_system_vgpr_workitem_id 0
		.amdhsa_next_free_vgpr 6
		.amdhsa_next_free_sgpr 6
		.amdhsa_accum_offset 8
		.amdhsa_reserve_vcc 0
		.amdhsa_reserve_flat_scratch 0
		.amdhsa_float_round_mode_32 0
		.amdhsa_float_round_mode_16_64 0
		.amdhsa_float_denorm_mode_32 3
		.amdhsa_float_denorm_mode_16_64 3
		.amdhsa_dx10_clamp 1
		.amdhsa_ieee_mode 1
		.amdhsa_fp16_overflow 0
		.amdhsa_tg_split 0
		.amdhsa_exception_fp_ieee_invalid_op 0
		.amdhsa_exception_fp_denorm_src 0
		.amdhsa_exception_fp_ieee_div_zero 0
		.amdhsa_exception_fp_ieee_overflow 0
		.amdhsa_exception_fp_ieee_underflow 0
		.amdhsa_exception_fp_ieee_inexact 0
		.amdhsa_exception_int_div_zero 0
	.end_amdhsa_kernel
	.section	.text._Z20warp_exchange_kernelILj1024ELj4ELj64ELN6hipcub21WarpExchangeAlgorithmE0E18BlockedToStripedOp6__halfEvPT4_S5_,"axG",@progbits,_Z20warp_exchange_kernelILj1024ELj4ELj64ELN6hipcub21WarpExchangeAlgorithmE0E18BlockedToStripedOp6__halfEvPT4_S5_,comdat
.Lfunc_end81:
	.size	_Z20warp_exchange_kernelILj1024ELj4ELj64ELN6hipcub21WarpExchangeAlgorithmE0E18BlockedToStripedOp6__halfEvPT4_S5_, .Lfunc_end81-_Z20warp_exchange_kernelILj1024ELj4ELj64ELN6hipcub21WarpExchangeAlgorithmE0E18BlockedToStripedOp6__halfEvPT4_S5_
                                        ; -- End function
	.section	.AMDGPU.csdata,"",@progbits
; Kernel info:
; codeLenInByte = 152
; NumSgprs: 10
; NumVgprs: 6
; NumAgprs: 0
; TotalNumVgprs: 6
; ScratchSize: 0
; MemoryBound: 0
; FloatMode: 240
; IeeeMode: 1
; LDSByteSize: 8192 bytes/workgroup (compile time only)
; SGPRBlocks: 1
; VGPRBlocks: 0
; NumSGPRsForWavesPerEU: 10
; NumVGPRsForWavesPerEU: 6
; AccumOffset: 8
; Occupancy: 8
; WaveLimiterHint : 0
; COMPUTE_PGM_RSRC2:SCRATCH_EN: 0
; COMPUTE_PGM_RSRC2:USER_SGPR: 6
; COMPUTE_PGM_RSRC2:TRAP_HANDLER: 0
; COMPUTE_PGM_RSRC2:TGID_X_EN: 1
; COMPUTE_PGM_RSRC2:TGID_Y_EN: 0
; COMPUTE_PGM_RSRC2:TGID_Z_EN: 0
; COMPUTE_PGM_RSRC2:TIDIG_COMP_CNT: 0
; COMPUTE_PGM_RSRC3_GFX90A:ACCUM_OFFSET: 1
; COMPUTE_PGM_RSRC3_GFX90A:TG_SPLIT: 0
	.section	.text._Z20warp_exchange_kernelILj1024ELj1ELj64ELN6hipcub21WarpExchangeAlgorithmE0E18BlockedToStripedOp6__halfEvPT4_S5_,"axG",@progbits,_Z20warp_exchange_kernelILj1024ELj1ELj64ELN6hipcub21WarpExchangeAlgorithmE0E18BlockedToStripedOp6__halfEvPT4_S5_,comdat
	.protected	_Z20warp_exchange_kernelILj1024ELj1ELj64ELN6hipcub21WarpExchangeAlgorithmE0E18BlockedToStripedOp6__halfEvPT4_S5_ ; -- Begin function _Z20warp_exchange_kernelILj1024ELj1ELj64ELN6hipcub21WarpExchangeAlgorithmE0E18BlockedToStripedOp6__halfEvPT4_S5_
	.globl	_Z20warp_exchange_kernelILj1024ELj1ELj64ELN6hipcub21WarpExchangeAlgorithmE0E18BlockedToStripedOp6__halfEvPT4_S5_
	.p2align	8
	.type	_Z20warp_exchange_kernelILj1024ELj1ELj64ELN6hipcub21WarpExchangeAlgorithmE0E18BlockedToStripedOp6__halfEvPT4_S5_,@function
_Z20warp_exchange_kernelILj1024ELj1ELj64ELN6hipcub21WarpExchangeAlgorithmE0E18BlockedToStripedOp6__halfEvPT4_S5_: ; @_Z20warp_exchange_kernelILj1024ELj1ELj64ELN6hipcub21WarpExchangeAlgorithmE0E18BlockedToStripedOp6__halfEvPT4_S5_
; %bb.0:
	s_load_dwordx4 s[0:3], s[4:5], 0x0
	v_lshlrev_b32_e32 v0, 1, v0
	v_mbcnt_lo_u32_b32 v2, -1, 0
	v_mbcnt_hi_u32_b32 v2, -1, v2
	v_and_b32_e32 v3, 0x780, v0
	s_waitcnt lgkmcnt(0)
	global_load_ushort v1, v0, s[0:1]
	v_lshl_add_u32 v2, v2, 1, v3
	s_waitcnt vmcnt(0)
	ds_write_b16 v2, v1
	; wave barrier
	ds_read_u16 v1, v2
	s_waitcnt lgkmcnt(0)
	global_store_short v0, v1, s[2:3]
	s_endpgm
	.section	.rodata,"a",@progbits
	.p2align	6, 0x0
	.amdhsa_kernel _Z20warp_exchange_kernelILj1024ELj1ELj64ELN6hipcub21WarpExchangeAlgorithmE0E18BlockedToStripedOp6__halfEvPT4_S5_
		.amdhsa_group_segment_fixed_size 2048
		.amdhsa_private_segment_fixed_size 0
		.amdhsa_kernarg_size 16
		.amdhsa_user_sgpr_count 6
		.amdhsa_user_sgpr_private_segment_buffer 1
		.amdhsa_user_sgpr_dispatch_ptr 0
		.amdhsa_user_sgpr_queue_ptr 0
		.amdhsa_user_sgpr_kernarg_segment_ptr 1
		.amdhsa_user_sgpr_dispatch_id 0
		.amdhsa_user_sgpr_flat_scratch_init 0
		.amdhsa_user_sgpr_kernarg_preload_length 0
		.amdhsa_user_sgpr_kernarg_preload_offset 0
		.amdhsa_user_sgpr_private_segment_size 0
		.amdhsa_uses_dynamic_stack 0
		.amdhsa_system_sgpr_private_segment_wavefront_offset 0
		.amdhsa_system_sgpr_workgroup_id_x 1
		.amdhsa_system_sgpr_workgroup_id_y 0
		.amdhsa_system_sgpr_workgroup_id_z 0
		.amdhsa_system_sgpr_workgroup_info 0
		.amdhsa_system_vgpr_workitem_id 0
		.amdhsa_next_free_vgpr 4
		.amdhsa_next_free_sgpr 6
		.amdhsa_accum_offset 4
		.amdhsa_reserve_vcc 0
		.amdhsa_reserve_flat_scratch 0
		.amdhsa_float_round_mode_32 0
		.amdhsa_float_round_mode_16_64 0
		.amdhsa_float_denorm_mode_32 3
		.amdhsa_float_denorm_mode_16_64 3
		.amdhsa_dx10_clamp 1
		.amdhsa_ieee_mode 1
		.amdhsa_fp16_overflow 0
		.amdhsa_tg_split 0
		.amdhsa_exception_fp_ieee_invalid_op 0
		.amdhsa_exception_fp_denorm_src 0
		.amdhsa_exception_fp_ieee_div_zero 0
		.amdhsa_exception_fp_ieee_overflow 0
		.amdhsa_exception_fp_ieee_underflow 0
		.amdhsa_exception_fp_ieee_inexact 0
		.amdhsa_exception_int_div_zero 0
	.end_amdhsa_kernel
	.section	.text._Z20warp_exchange_kernelILj1024ELj1ELj64ELN6hipcub21WarpExchangeAlgorithmE0E18BlockedToStripedOp6__halfEvPT4_S5_,"axG",@progbits,_Z20warp_exchange_kernelILj1024ELj1ELj64ELN6hipcub21WarpExchangeAlgorithmE0E18BlockedToStripedOp6__halfEvPT4_S5_,comdat
.Lfunc_end82:
	.size	_Z20warp_exchange_kernelILj1024ELj1ELj64ELN6hipcub21WarpExchangeAlgorithmE0E18BlockedToStripedOp6__halfEvPT4_S5_, .Lfunc_end82-_Z20warp_exchange_kernelILj1024ELj1ELj64ELN6hipcub21WarpExchangeAlgorithmE0E18BlockedToStripedOp6__halfEvPT4_S5_
                                        ; -- End function
	.section	.AMDGPU.csdata,"",@progbits
; Kernel info:
; codeLenInByte = 92
; NumSgprs: 10
; NumVgprs: 4
; NumAgprs: 0
; TotalNumVgprs: 4
; ScratchSize: 0
; MemoryBound: 0
; FloatMode: 240
; IeeeMode: 1
; LDSByteSize: 2048 bytes/workgroup (compile time only)
; SGPRBlocks: 1
; VGPRBlocks: 0
; NumSGPRsForWavesPerEU: 10
; NumVGPRsForWavesPerEU: 4
; AccumOffset: 4
; Occupancy: 8
; WaveLimiterHint : 0
; COMPUTE_PGM_RSRC2:SCRATCH_EN: 0
; COMPUTE_PGM_RSRC2:USER_SGPR: 6
; COMPUTE_PGM_RSRC2:TRAP_HANDLER: 0
; COMPUTE_PGM_RSRC2:TGID_X_EN: 1
; COMPUTE_PGM_RSRC2:TGID_Y_EN: 0
; COMPUTE_PGM_RSRC2:TGID_Z_EN: 0
; COMPUTE_PGM_RSRC2:TIDIG_COMP_CNT: 0
; COMPUTE_PGM_RSRC3_GFX90A:ACCUM_OFFSET: 0
; COMPUTE_PGM_RSRC3_GFX90A:TG_SPLIT: 0
	.section	.text._Z20warp_exchange_kernelILj1024ELj5ELj32ELN6hipcub21WarpExchangeAlgorithmE0E18BlockedToStripedOp6__halfEvPT4_S5_,"axG",@progbits,_Z20warp_exchange_kernelILj1024ELj5ELj32ELN6hipcub21WarpExchangeAlgorithmE0E18BlockedToStripedOp6__halfEvPT4_S5_,comdat
	.protected	_Z20warp_exchange_kernelILj1024ELj5ELj32ELN6hipcub21WarpExchangeAlgorithmE0E18BlockedToStripedOp6__halfEvPT4_S5_ ; -- Begin function _Z20warp_exchange_kernelILj1024ELj5ELj32ELN6hipcub21WarpExchangeAlgorithmE0E18BlockedToStripedOp6__halfEvPT4_S5_
	.globl	_Z20warp_exchange_kernelILj1024ELj5ELj32ELN6hipcub21WarpExchangeAlgorithmE0E18BlockedToStripedOp6__halfEvPT4_S5_
	.p2align	8
	.type	_Z20warp_exchange_kernelILj1024ELj5ELj32ELN6hipcub21WarpExchangeAlgorithmE0E18BlockedToStripedOp6__halfEvPT4_S5_,@function
_Z20warp_exchange_kernelILj1024ELj5ELj32ELN6hipcub21WarpExchangeAlgorithmE0E18BlockedToStripedOp6__halfEvPT4_S5_: ; @_Z20warp_exchange_kernelILj1024ELj5ELj32ELN6hipcub21WarpExchangeAlgorithmE0E18BlockedToStripedOp6__halfEvPT4_S5_
; %bb.0:
	s_load_dwordx4 s[0:3], s[4:5], 0x0
	v_mul_u32_u24_e32 v1, 5, v0
	v_lshlrev_b32_e32 v4, 1, v1
	v_mbcnt_lo_u32_b32 v5, -1, 0
	v_mbcnt_hi_u32_b32 v5, -1, v5
	s_waitcnt lgkmcnt(0)
	global_load_dwordx2 v[2:3], v4, s[0:1]
	global_load_ushort v1, v4, s[0:1] offset:8
	v_and_b32_e32 v5, 31, v5
	s_movk_i32 s0, 0x140
	v_lshrrev_b32_e32 v0, 5, v0
	v_mul_u32_u24_e32 v6, 10, v5
	v_lshlrev_b32_e32 v5, 3, v5
	v_mad_u32_u24 v0, v0, s0, v6
	v_sub_u32_e32 v5, v0, v5
	s_mov_b32 s0, 0x5040100
	s_waitcnt vmcnt(1)
	ds_write_b64 v0, v[2:3]
	s_waitcnt vmcnt(0)
	ds_write_b16 v0, v1 offset:8
	; wave barrier
	ds_read_u16 v0, v5 offset:128
	ds_read_u16 v1, v5 offset:192
	ds_read_u16 v2, v5
	ds_read_u16 v3, v5 offset:64
	ds_read_u16 v5, v5 offset:256
	s_waitcnt lgkmcnt(3)
	v_perm_b32 v1, v1, v0, s0
	s_waitcnt lgkmcnt(1)
	v_perm_b32 v0, v3, v2, s0
	s_waitcnt lgkmcnt(0)
	global_store_short v4, v5, s[2:3] offset:8
	global_store_dwordx2 v4, v[0:1], s[2:3]
	s_endpgm
	.section	.rodata,"a",@progbits
	.p2align	6, 0x0
	.amdhsa_kernel _Z20warp_exchange_kernelILj1024ELj5ELj32ELN6hipcub21WarpExchangeAlgorithmE0E18BlockedToStripedOp6__halfEvPT4_S5_
		.amdhsa_group_segment_fixed_size 10240
		.amdhsa_private_segment_fixed_size 0
		.amdhsa_kernarg_size 16
		.amdhsa_user_sgpr_count 6
		.amdhsa_user_sgpr_private_segment_buffer 1
		.amdhsa_user_sgpr_dispatch_ptr 0
		.amdhsa_user_sgpr_queue_ptr 0
		.amdhsa_user_sgpr_kernarg_segment_ptr 1
		.amdhsa_user_sgpr_dispatch_id 0
		.amdhsa_user_sgpr_flat_scratch_init 0
		.amdhsa_user_sgpr_kernarg_preload_length 0
		.amdhsa_user_sgpr_kernarg_preload_offset 0
		.amdhsa_user_sgpr_private_segment_size 0
		.amdhsa_uses_dynamic_stack 0
		.amdhsa_system_sgpr_private_segment_wavefront_offset 0
		.amdhsa_system_sgpr_workgroup_id_x 1
		.amdhsa_system_sgpr_workgroup_id_y 0
		.amdhsa_system_sgpr_workgroup_id_z 0
		.amdhsa_system_sgpr_workgroup_info 0
		.amdhsa_system_vgpr_workitem_id 0
		.amdhsa_next_free_vgpr 7
		.amdhsa_next_free_sgpr 6
		.amdhsa_accum_offset 8
		.amdhsa_reserve_vcc 0
		.amdhsa_reserve_flat_scratch 0
		.amdhsa_float_round_mode_32 0
		.amdhsa_float_round_mode_16_64 0
		.amdhsa_float_denorm_mode_32 3
		.amdhsa_float_denorm_mode_16_64 3
		.amdhsa_dx10_clamp 1
		.amdhsa_ieee_mode 1
		.amdhsa_fp16_overflow 0
		.amdhsa_tg_split 0
		.amdhsa_exception_fp_ieee_invalid_op 0
		.amdhsa_exception_fp_denorm_src 0
		.amdhsa_exception_fp_ieee_div_zero 0
		.amdhsa_exception_fp_ieee_overflow 0
		.amdhsa_exception_fp_ieee_underflow 0
		.amdhsa_exception_fp_ieee_inexact 0
		.amdhsa_exception_int_div_zero 0
	.end_amdhsa_kernel
	.section	.text._Z20warp_exchange_kernelILj1024ELj5ELj32ELN6hipcub21WarpExchangeAlgorithmE0E18BlockedToStripedOp6__halfEvPT4_S5_,"axG",@progbits,_Z20warp_exchange_kernelILj1024ELj5ELj32ELN6hipcub21WarpExchangeAlgorithmE0E18BlockedToStripedOp6__halfEvPT4_S5_,comdat
.Lfunc_end83:
	.size	_Z20warp_exchange_kernelILj1024ELj5ELj32ELN6hipcub21WarpExchangeAlgorithmE0E18BlockedToStripedOp6__halfEvPT4_S5_, .Lfunc_end83-_Z20warp_exchange_kernelILj1024ELj5ELj32ELN6hipcub21WarpExchangeAlgorithmE0E18BlockedToStripedOp6__halfEvPT4_S5_
                                        ; -- End function
	.section	.AMDGPU.csdata,"",@progbits
; Kernel info:
; codeLenInByte = 204
; NumSgprs: 10
; NumVgprs: 7
; NumAgprs: 0
; TotalNumVgprs: 7
; ScratchSize: 0
; MemoryBound: 0
; FloatMode: 240
; IeeeMode: 1
; LDSByteSize: 10240 bytes/workgroup (compile time only)
; SGPRBlocks: 1
; VGPRBlocks: 0
; NumSGPRsForWavesPerEU: 10
; NumVGPRsForWavesPerEU: 7
; AccumOffset: 8
; Occupancy: 8
; WaveLimiterHint : 0
; COMPUTE_PGM_RSRC2:SCRATCH_EN: 0
; COMPUTE_PGM_RSRC2:USER_SGPR: 6
; COMPUTE_PGM_RSRC2:TRAP_HANDLER: 0
; COMPUTE_PGM_RSRC2:TGID_X_EN: 1
; COMPUTE_PGM_RSRC2:TGID_Y_EN: 0
; COMPUTE_PGM_RSRC2:TGID_Z_EN: 0
; COMPUTE_PGM_RSRC2:TIDIG_COMP_CNT: 0
; COMPUTE_PGM_RSRC3_GFX90A:ACCUM_OFFSET: 1
; COMPUTE_PGM_RSRC3_GFX90A:TG_SPLIT: 0
	.section	.text._Z20warp_exchange_kernelILj1024ELj4ELj32ELN6hipcub21WarpExchangeAlgorithmE0E18BlockedToStripedOp6__halfEvPT4_S5_,"axG",@progbits,_Z20warp_exchange_kernelILj1024ELj4ELj32ELN6hipcub21WarpExchangeAlgorithmE0E18BlockedToStripedOp6__halfEvPT4_S5_,comdat
	.protected	_Z20warp_exchange_kernelILj1024ELj4ELj32ELN6hipcub21WarpExchangeAlgorithmE0E18BlockedToStripedOp6__halfEvPT4_S5_ ; -- Begin function _Z20warp_exchange_kernelILj1024ELj4ELj32ELN6hipcub21WarpExchangeAlgorithmE0E18BlockedToStripedOp6__halfEvPT4_S5_
	.globl	_Z20warp_exchange_kernelILj1024ELj4ELj32ELN6hipcub21WarpExchangeAlgorithmE0E18BlockedToStripedOp6__halfEvPT4_S5_
	.p2align	8
	.type	_Z20warp_exchange_kernelILj1024ELj4ELj32ELN6hipcub21WarpExchangeAlgorithmE0E18BlockedToStripedOp6__halfEvPT4_S5_,@function
_Z20warp_exchange_kernelILj1024ELj4ELj32ELN6hipcub21WarpExchangeAlgorithmE0E18BlockedToStripedOp6__halfEvPT4_S5_: ; @_Z20warp_exchange_kernelILj1024ELj4ELj32ELN6hipcub21WarpExchangeAlgorithmE0E18BlockedToStripedOp6__halfEvPT4_S5_
; %bb.0:
	s_load_dwordx4 s[0:3], s[4:5], 0x0
	v_lshlrev_b32_e32 v2, 3, v0
	v_mbcnt_lo_u32_b32 v3, -1, 0
	v_mbcnt_hi_u32_b32 v3, -1, v3
	v_and_b32_e32 v3, 31, v3
	s_waitcnt lgkmcnt(0)
	global_load_dwordx2 v[0:1], v2, s[0:1]
	s_movk_i32 s0, 0x1f00
	v_lshlrev_b32_e32 v4, 3, v3
	v_and_or_b32 v4, v2, s0, v4
	v_mad_i32_i24 v3, v3, -6, v4
	s_mov_b32 s0, 0x5040100
	s_waitcnt vmcnt(0)
	ds_write_b64 v4, v[0:1]
	; wave barrier
	ds_read_u16 v0, v3 offset:128
	ds_read_u16 v1, v3 offset:192
	ds_read_u16 v4, v3
	ds_read_u16 v3, v3 offset:64
	s_waitcnt lgkmcnt(2)
	v_perm_b32 v1, v1, v0, s0
	s_waitcnt lgkmcnt(0)
	v_perm_b32 v0, v3, v4, s0
	global_store_dwordx2 v2, v[0:1], s[2:3]
	s_endpgm
	.section	.rodata,"a",@progbits
	.p2align	6, 0x0
	.amdhsa_kernel _Z20warp_exchange_kernelILj1024ELj4ELj32ELN6hipcub21WarpExchangeAlgorithmE0E18BlockedToStripedOp6__halfEvPT4_S5_
		.amdhsa_group_segment_fixed_size 8192
		.amdhsa_private_segment_fixed_size 0
		.amdhsa_kernarg_size 16
		.amdhsa_user_sgpr_count 6
		.amdhsa_user_sgpr_private_segment_buffer 1
		.amdhsa_user_sgpr_dispatch_ptr 0
		.amdhsa_user_sgpr_queue_ptr 0
		.amdhsa_user_sgpr_kernarg_segment_ptr 1
		.amdhsa_user_sgpr_dispatch_id 0
		.amdhsa_user_sgpr_flat_scratch_init 0
		.amdhsa_user_sgpr_kernarg_preload_length 0
		.amdhsa_user_sgpr_kernarg_preload_offset 0
		.amdhsa_user_sgpr_private_segment_size 0
		.amdhsa_uses_dynamic_stack 0
		.amdhsa_system_sgpr_private_segment_wavefront_offset 0
		.amdhsa_system_sgpr_workgroup_id_x 1
		.amdhsa_system_sgpr_workgroup_id_y 0
		.amdhsa_system_sgpr_workgroup_id_z 0
		.amdhsa_system_sgpr_workgroup_info 0
		.amdhsa_system_vgpr_workitem_id 0
		.amdhsa_next_free_vgpr 5
		.amdhsa_next_free_sgpr 6
		.amdhsa_accum_offset 8
		.amdhsa_reserve_vcc 0
		.amdhsa_reserve_flat_scratch 0
		.amdhsa_float_round_mode_32 0
		.amdhsa_float_round_mode_16_64 0
		.amdhsa_float_denorm_mode_32 3
		.amdhsa_float_denorm_mode_16_64 3
		.amdhsa_dx10_clamp 1
		.amdhsa_ieee_mode 1
		.amdhsa_fp16_overflow 0
		.amdhsa_tg_split 0
		.amdhsa_exception_fp_ieee_invalid_op 0
		.amdhsa_exception_fp_denorm_src 0
		.amdhsa_exception_fp_ieee_div_zero 0
		.amdhsa_exception_fp_ieee_overflow 0
		.amdhsa_exception_fp_ieee_underflow 0
		.amdhsa_exception_fp_ieee_inexact 0
		.amdhsa_exception_int_div_zero 0
	.end_amdhsa_kernel
	.section	.text._Z20warp_exchange_kernelILj1024ELj4ELj32ELN6hipcub21WarpExchangeAlgorithmE0E18BlockedToStripedOp6__halfEvPT4_S5_,"axG",@progbits,_Z20warp_exchange_kernelILj1024ELj4ELj32ELN6hipcub21WarpExchangeAlgorithmE0E18BlockedToStripedOp6__halfEvPT4_S5_,comdat
.Lfunc_end84:
	.size	_Z20warp_exchange_kernelILj1024ELj4ELj32ELN6hipcub21WarpExchangeAlgorithmE0E18BlockedToStripedOp6__halfEvPT4_S5_, .Lfunc_end84-_Z20warp_exchange_kernelILj1024ELj4ELj32ELN6hipcub21WarpExchangeAlgorithmE0E18BlockedToStripedOp6__halfEvPT4_S5_
                                        ; -- End function
	.section	.AMDGPU.csdata,"",@progbits
; Kernel info:
; codeLenInByte = 156
; NumSgprs: 10
; NumVgprs: 5
; NumAgprs: 0
; TotalNumVgprs: 5
; ScratchSize: 0
; MemoryBound: 0
; FloatMode: 240
; IeeeMode: 1
; LDSByteSize: 8192 bytes/workgroup (compile time only)
; SGPRBlocks: 1
; VGPRBlocks: 0
; NumSGPRsForWavesPerEU: 10
; NumVGPRsForWavesPerEU: 5
; AccumOffset: 8
; Occupancy: 8
; WaveLimiterHint : 0
; COMPUTE_PGM_RSRC2:SCRATCH_EN: 0
; COMPUTE_PGM_RSRC2:USER_SGPR: 6
; COMPUTE_PGM_RSRC2:TRAP_HANDLER: 0
; COMPUTE_PGM_RSRC2:TGID_X_EN: 1
; COMPUTE_PGM_RSRC2:TGID_Y_EN: 0
; COMPUTE_PGM_RSRC2:TGID_Z_EN: 0
; COMPUTE_PGM_RSRC2:TIDIG_COMP_CNT: 0
; COMPUTE_PGM_RSRC3_GFX90A:ACCUM_OFFSET: 1
; COMPUTE_PGM_RSRC3_GFX90A:TG_SPLIT: 0
	.section	.text._Z20warp_exchange_kernelILj1024ELj1ELj32ELN6hipcub21WarpExchangeAlgorithmE0E18BlockedToStripedOp6__halfEvPT4_S5_,"axG",@progbits,_Z20warp_exchange_kernelILj1024ELj1ELj32ELN6hipcub21WarpExchangeAlgorithmE0E18BlockedToStripedOp6__halfEvPT4_S5_,comdat
	.protected	_Z20warp_exchange_kernelILj1024ELj1ELj32ELN6hipcub21WarpExchangeAlgorithmE0E18BlockedToStripedOp6__halfEvPT4_S5_ ; -- Begin function _Z20warp_exchange_kernelILj1024ELj1ELj32ELN6hipcub21WarpExchangeAlgorithmE0E18BlockedToStripedOp6__halfEvPT4_S5_
	.globl	_Z20warp_exchange_kernelILj1024ELj1ELj32ELN6hipcub21WarpExchangeAlgorithmE0E18BlockedToStripedOp6__halfEvPT4_S5_
	.p2align	8
	.type	_Z20warp_exchange_kernelILj1024ELj1ELj32ELN6hipcub21WarpExchangeAlgorithmE0E18BlockedToStripedOp6__halfEvPT4_S5_,@function
_Z20warp_exchange_kernelILj1024ELj1ELj32ELN6hipcub21WarpExchangeAlgorithmE0E18BlockedToStripedOp6__halfEvPT4_S5_: ; @_Z20warp_exchange_kernelILj1024ELj1ELj32ELN6hipcub21WarpExchangeAlgorithmE0E18BlockedToStripedOp6__halfEvPT4_S5_
; %bb.0:
	s_load_dwordx4 s[0:3], s[4:5], 0x0
	v_lshlrev_b32_e32 v0, 1, v0
	v_mbcnt_lo_u32_b32 v2, -1, 0
	v_mbcnt_hi_u32_b32 v2, -1, v2
	v_and_b32_e32 v2, 31, v2
	s_waitcnt lgkmcnt(0)
	global_load_ushort v1, v0, s[0:1]
	s_movk_i32 s0, 0x7c0
	v_lshlrev_b32_e32 v2, 1, v2
	v_and_or_b32 v2, v0, s0, v2
	s_waitcnt vmcnt(0)
	ds_write_b16 v2, v1
	; wave barrier
	ds_read_u16 v1, v2
	s_waitcnt lgkmcnt(0)
	global_store_short v0, v1, s[2:3]
	s_endpgm
	.section	.rodata,"a",@progbits
	.p2align	6, 0x0
	.amdhsa_kernel _Z20warp_exchange_kernelILj1024ELj1ELj32ELN6hipcub21WarpExchangeAlgorithmE0E18BlockedToStripedOp6__halfEvPT4_S5_
		.amdhsa_group_segment_fixed_size 2048
		.amdhsa_private_segment_fixed_size 0
		.amdhsa_kernarg_size 16
		.amdhsa_user_sgpr_count 6
		.amdhsa_user_sgpr_private_segment_buffer 1
		.amdhsa_user_sgpr_dispatch_ptr 0
		.amdhsa_user_sgpr_queue_ptr 0
		.amdhsa_user_sgpr_kernarg_segment_ptr 1
		.amdhsa_user_sgpr_dispatch_id 0
		.amdhsa_user_sgpr_flat_scratch_init 0
		.amdhsa_user_sgpr_kernarg_preload_length 0
		.amdhsa_user_sgpr_kernarg_preload_offset 0
		.amdhsa_user_sgpr_private_segment_size 0
		.amdhsa_uses_dynamic_stack 0
		.amdhsa_system_sgpr_private_segment_wavefront_offset 0
		.amdhsa_system_sgpr_workgroup_id_x 1
		.amdhsa_system_sgpr_workgroup_id_y 0
		.amdhsa_system_sgpr_workgroup_id_z 0
		.amdhsa_system_sgpr_workgroup_info 0
		.amdhsa_system_vgpr_workitem_id 0
		.amdhsa_next_free_vgpr 3
		.amdhsa_next_free_sgpr 6
		.amdhsa_accum_offset 4
		.amdhsa_reserve_vcc 0
		.amdhsa_reserve_flat_scratch 0
		.amdhsa_float_round_mode_32 0
		.amdhsa_float_round_mode_16_64 0
		.amdhsa_float_denorm_mode_32 3
		.amdhsa_float_denorm_mode_16_64 3
		.amdhsa_dx10_clamp 1
		.amdhsa_ieee_mode 1
		.amdhsa_fp16_overflow 0
		.amdhsa_tg_split 0
		.amdhsa_exception_fp_ieee_invalid_op 0
		.amdhsa_exception_fp_denorm_src 0
		.amdhsa_exception_fp_ieee_div_zero 0
		.amdhsa_exception_fp_ieee_overflow 0
		.amdhsa_exception_fp_ieee_underflow 0
		.amdhsa_exception_fp_ieee_inexact 0
		.amdhsa_exception_int_div_zero 0
	.end_amdhsa_kernel
	.section	.text._Z20warp_exchange_kernelILj1024ELj1ELj32ELN6hipcub21WarpExchangeAlgorithmE0E18BlockedToStripedOp6__halfEvPT4_S5_,"axG",@progbits,_Z20warp_exchange_kernelILj1024ELj1ELj32ELN6hipcub21WarpExchangeAlgorithmE0E18BlockedToStripedOp6__halfEvPT4_S5_,comdat
.Lfunc_end85:
	.size	_Z20warp_exchange_kernelILj1024ELj1ELj32ELN6hipcub21WarpExchangeAlgorithmE0E18BlockedToStripedOp6__halfEvPT4_S5_, .Lfunc_end85-_Z20warp_exchange_kernelILj1024ELj1ELj32ELN6hipcub21WarpExchangeAlgorithmE0E18BlockedToStripedOp6__halfEvPT4_S5_
                                        ; -- End function
	.section	.AMDGPU.csdata,"",@progbits
; Kernel info:
; codeLenInByte = 96
; NumSgprs: 10
; NumVgprs: 3
; NumAgprs: 0
; TotalNumVgprs: 3
; ScratchSize: 0
; MemoryBound: 0
; FloatMode: 240
; IeeeMode: 1
; LDSByteSize: 2048 bytes/workgroup (compile time only)
; SGPRBlocks: 1
; VGPRBlocks: 0
; NumSGPRsForWavesPerEU: 10
; NumVGPRsForWavesPerEU: 3
; AccumOffset: 4
; Occupancy: 8
; WaveLimiterHint : 0
; COMPUTE_PGM_RSRC2:SCRATCH_EN: 0
; COMPUTE_PGM_RSRC2:USER_SGPR: 6
; COMPUTE_PGM_RSRC2:TRAP_HANDLER: 0
; COMPUTE_PGM_RSRC2:TGID_X_EN: 1
; COMPUTE_PGM_RSRC2:TGID_Y_EN: 0
; COMPUTE_PGM_RSRC2:TGID_Z_EN: 0
; COMPUTE_PGM_RSRC2:TIDIG_COMP_CNT: 0
; COMPUTE_PGM_RSRC3_GFX90A:ACCUM_OFFSET: 0
; COMPUTE_PGM_RSRC3_GFX90A:TG_SPLIT: 0
	.section	.text._Z20warp_exchange_kernelILj1024ELj5ELj16ELN6hipcub21WarpExchangeAlgorithmE0E18BlockedToStripedOp6__halfEvPT4_S5_,"axG",@progbits,_Z20warp_exchange_kernelILj1024ELj5ELj16ELN6hipcub21WarpExchangeAlgorithmE0E18BlockedToStripedOp6__halfEvPT4_S5_,comdat
	.protected	_Z20warp_exchange_kernelILj1024ELj5ELj16ELN6hipcub21WarpExchangeAlgorithmE0E18BlockedToStripedOp6__halfEvPT4_S5_ ; -- Begin function _Z20warp_exchange_kernelILj1024ELj5ELj16ELN6hipcub21WarpExchangeAlgorithmE0E18BlockedToStripedOp6__halfEvPT4_S5_
	.globl	_Z20warp_exchange_kernelILj1024ELj5ELj16ELN6hipcub21WarpExchangeAlgorithmE0E18BlockedToStripedOp6__halfEvPT4_S5_
	.p2align	8
	.type	_Z20warp_exchange_kernelILj1024ELj5ELj16ELN6hipcub21WarpExchangeAlgorithmE0E18BlockedToStripedOp6__halfEvPT4_S5_,@function
_Z20warp_exchange_kernelILj1024ELj5ELj16ELN6hipcub21WarpExchangeAlgorithmE0E18BlockedToStripedOp6__halfEvPT4_S5_: ; @_Z20warp_exchange_kernelILj1024ELj5ELj16ELN6hipcub21WarpExchangeAlgorithmE0E18BlockedToStripedOp6__halfEvPT4_S5_
; %bb.0:
	s_load_dwordx4 s[0:3], s[4:5], 0x0
	v_mul_u32_u24_e32 v1, 5, v0
	v_lshlrev_b32_e32 v4, 1, v1
	v_mbcnt_lo_u32_b32 v5, -1, 0
	v_mbcnt_hi_u32_b32 v5, -1, v5
	s_waitcnt lgkmcnt(0)
	global_load_dwordx2 v[2:3], v4, s[0:1]
	global_load_ushort v1, v4, s[0:1] offset:8
	v_and_b32_e32 v5, 15, v5
	s_movk_i32 s0, 0xa0
	v_lshrrev_b32_e32 v0, 4, v0
	v_mul_u32_u24_e32 v6, 10, v5
	v_lshlrev_b32_e32 v5, 3, v5
	v_mad_u32_u24 v0, v0, s0, v6
	v_sub_u32_e32 v5, v0, v5
	s_mov_b32 s0, 0x5040100
	s_waitcnt vmcnt(1)
	ds_write_b64 v0, v[2:3]
	s_waitcnt vmcnt(0)
	ds_write_b16 v0, v1 offset:8
	; wave barrier
	ds_read_u16 v0, v5 offset:64
	ds_read_u16 v1, v5 offset:96
	ds_read_u16 v2, v5
	ds_read_u16 v3, v5 offset:32
	ds_read_u16 v5, v5 offset:128
	s_waitcnt lgkmcnt(3)
	v_perm_b32 v1, v1, v0, s0
	s_waitcnt lgkmcnt(1)
	v_perm_b32 v0, v3, v2, s0
	s_waitcnt lgkmcnt(0)
	global_store_short v4, v5, s[2:3] offset:8
	global_store_dwordx2 v4, v[0:1], s[2:3]
	s_endpgm
	.section	.rodata,"a",@progbits
	.p2align	6, 0x0
	.amdhsa_kernel _Z20warp_exchange_kernelILj1024ELj5ELj16ELN6hipcub21WarpExchangeAlgorithmE0E18BlockedToStripedOp6__halfEvPT4_S5_
		.amdhsa_group_segment_fixed_size 10240
		.amdhsa_private_segment_fixed_size 0
		.amdhsa_kernarg_size 16
		.amdhsa_user_sgpr_count 6
		.amdhsa_user_sgpr_private_segment_buffer 1
		.amdhsa_user_sgpr_dispatch_ptr 0
		.amdhsa_user_sgpr_queue_ptr 0
		.amdhsa_user_sgpr_kernarg_segment_ptr 1
		.amdhsa_user_sgpr_dispatch_id 0
		.amdhsa_user_sgpr_flat_scratch_init 0
		.amdhsa_user_sgpr_kernarg_preload_length 0
		.amdhsa_user_sgpr_kernarg_preload_offset 0
		.amdhsa_user_sgpr_private_segment_size 0
		.amdhsa_uses_dynamic_stack 0
		.amdhsa_system_sgpr_private_segment_wavefront_offset 0
		.amdhsa_system_sgpr_workgroup_id_x 1
		.amdhsa_system_sgpr_workgroup_id_y 0
		.amdhsa_system_sgpr_workgroup_id_z 0
		.amdhsa_system_sgpr_workgroup_info 0
		.amdhsa_system_vgpr_workitem_id 0
		.amdhsa_next_free_vgpr 7
		.amdhsa_next_free_sgpr 6
		.amdhsa_accum_offset 8
		.amdhsa_reserve_vcc 0
		.amdhsa_reserve_flat_scratch 0
		.amdhsa_float_round_mode_32 0
		.amdhsa_float_round_mode_16_64 0
		.amdhsa_float_denorm_mode_32 3
		.amdhsa_float_denorm_mode_16_64 3
		.amdhsa_dx10_clamp 1
		.amdhsa_ieee_mode 1
		.amdhsa_fp16_overflow 0
		.amdhsa_tg_split 0
		.amdhsa_exception_fp_ieee_invalid_op 0
		.amdhsa_exception_fp_denorm_src 0
		.amdhsa_exception_fp_ieee_div_zero 0
		.amdhsa_exception_fp_ieee_overflow 0
		.amdhsa_exception_fp_ieee_underflow 0
		.amdhsa_exception_fp_ieee_inexact 0
		.amdhsa_exception_int_div_zero 0
	.end_amdhsa_kernel
	.section	.text._Z20warp_exchange_kernelILj1024ELj5ELj16ELN6hipcub21WarpExchangeAlgorithmE0E18BlockedToStripedOp6__halfEvPT4_S5_,"axG",@progbits,_Z20warp_exchange_kernelILj1024ELj5ELj16ELN6hipcub21WarpExchangeAlgorithmE0E18BlockedToStripedOp6__halfEvPT4_S5_,comdat
.Lfunc_end86:
	.size	_Z20warp_exchange_kernelILj1024ELj5ELj16ELN6hipcub21WarpExchangeAlgorithmE0E18BlockedToStripedOp6__halfEvPT4_S5_, .Lfunc_end86-_Z20warp_exchange_kernelILj1024ELj5ELj16ELN6hipcub21WarpExchangeAlgorithmE0E18BlockedToStripedOp6__halfEvPT4_S5_
                                        ; -- End function
	.section	.AMDGPU.csdata,"",@progbits
; Kernel info:
; codeLenInByte = 204
; NumSgprs: 10
; NumVgprs: 7
; NumAgprs: 0
; TotalNumVgprs: 7
; ScratchSize: 0
; MemoryBound: 0
; FloatMode: 240
; IeeeMode: 1
; LDSByteSize: 10240 bytes/workgroup (compile time only)
; SGPRBlocks: 1
; VGPRBlocks: 0
; NumSGPRsForWavesPerEU: 10
; NumVGPRsForWavesPerEU: 7
; AccumOffset: 8
; Occupancy: 8
; WaveLimiterHint : 0
; COMPUTE_PGM_RSRC2:SCRATCH_EN: 0
; COMPUTE_PGM_RSRC2:USER_SGPR: 6
; COMPUTE_PGM_RSRC2:TRAP_HANDLER: 0
; COMPUTE_PGM_RSRC2:TGID_X_EN: 1
; COMPUTE_PGM_RSRC2:TGID_Y_EN: 0
; COMPUTE_PGM_RSRC2:TGID_Z_EN: 0
; COMPUTE_PGM_RSRC2:TIDIG_COMP_CNT: 0
; COMPUTE_PGM_RSRC3_GFX90A:ACCUM_OFFSET: 1
; COMPUTE_PGM_RSRC3_GFX90A:TG_SPLIT: 0
	.section	.text._Z20warp_exchange_kernelILj1024ELj4ELj16ELN6hipcub21WarpExchangeAlgorithmE0E18BlockedToStripedOp6__halfEvPT4_S5_,"axG",@progbits,_Z20warp_exchange_kernelILj1024ELj4ELj16ELN6hipcub21WarpExchangeAlgorithmE0E18BlockedToStripedOp6__halfEvPT4_S5_,comdat
	.protected	_Z20warp_exchange_kernelILj1024ELj4ELj16ELN6hipcub21WarpExchangeAlgorithmE0E18BlockedToStripedOp6__halfEvPT4_S5_ ; -- Begin function _Z20warp_exchange_kernelILj1024ELj4ELj16ELN6hipcub21WarpExchangeAlgorithmE0E18BlockedToStripedOp6__halfEvPT4_S5_
	.globl	_Z20warp_exchange_kernelILj1024ELj4ELj16ELN6hipcub21WarpExchangeAlgorithmE0E18BlockedToStripedOp6__halfEvPT4_S5_
	.p2align	8
	.type	_Z20warp_exchange_kernelILj1024ELj4ELj16ELN6hipcub21WarpExchangeAlgorithmE0E18BlockedToStripedOp6__halfEvPT4_S5_,@function
_Z20warp_exchange_kernelILj1024ELj4ELj16ELN6hipcub21WarpExchangeAlgorithmE0E18BlockedToStripedOp6__halfEvPT4_S5_: ; @_Z20warp_exchange_kernelILj1024ELj4ELj16ELN6hipcub21WarpExchangeAlgorithmE0E18BlockedToStripedOp6__halfEvPT4_S5_
; %bb.0:
	s_load_dwordx4 s[0:3], s[4:5], 0x0
	v_lshlrev_b32_e32 v2, 3, v0
	v_mbcnt_lo_u32_b32 v3, -1, 0
	v_mbcnt_hi_u32_b32 v3, -1, v3
	v_and_b32_e32 v3, 15, v3
	s_waitcnt lgkmcnt(0)
	global_load_dwordx2 v[0:1], v2, s[0:1]
	s_movk_i32 s0, 0x1f80
	v_lshlrev_b32_e32 v4, 3, v3
	v_and_or_b32 v4, v2, s0, v4
	v_mad_i32_i24 v3, v3, -6, v4
	s_mov_b32 s0, 0x5040100
	s_waitcnt vmcnt(0)
	ds_write_b64 v4, v[0:1]
	; wave barrier
	ds_read_u16 v0, v3 offset:64
	ds_read_u16 v1, v3 offset:96
	ds_read_u16 v4, v3
	ds_read_u16 v3, v3 offset:32
	s_waitcnt lgkmcnt(2)
	v_perm_b32 v1, v1, v0, s0
	s_waitcnt lgkmcnt(0)
	v_perm_b32 v0, v3, v4, s0
	global_store_dwordx2 v2, v[0:1], s[2:3]
	s_endpgm
	.section	.rodata,"a",@progbits
	.p2align	6, 0x0
	.amdhsa_kernel _Z20warp_exchange_kernelILj1024ELj4ELj16ELN6hipcub21WarpExchangeAlgorithmE0E18BlockedToStripedOp6__halfEvPT4_S5_
		.amdhsa_group_segment_fixed_size 8192
		.amdhsa_private_segment_fixed_size 0
		.amdhsa_kernarg_size 16
		.amdhsa_user_sgpr_count 6
		.amdhsa_user_sgpr_private_segment_buffer 1
		.amdhsa_user_sgpr_dispatch_ptr 0
		.amdhsa_user_sgpr_queue_ptr 0
		.amdhsa_user_sgpr_kernarg_segment_ptr 1
		.amdhsa_user_sgpr_dispatch_id 0
		.amdhsa_user_sgpr_flat_scratch_init 0
		.amdhsa_user_sgpr_kernarg_preload_length 0
		.amdhsa_user_sgpr_kernarg_preload_offset 0
		.amdhsa_user_sgpr_private_segment_size 0
		.amdhsa_uses_dynamic_stack 0
		.amdhsa_system_sgpr_private_segment_wavefront_offset 0
		.amdhsa_system_sgpr_workgroup_id_x 1
		.amdhsa_system_sgpr_workgroup_id_y 0
		.amdhsa_system_sgpr_workgroup_id_z 0
		.amdhsa_system_sgpr_workgroup_info 0
		.amdhsa_system_vgpr_workitem_id 0
		.amdhsa_next_free_vgpr 5
		.amdhsa_next_free_sgpr 6
		.amdhsa_accum_offset 8
		.amdhsa_reserve_vcc 0
		.amdhsa_reserve_flat_scratch 0
		.amdhsa_float_round_mode_32 0
		.amdhsa_float_round_mode_16_64 0
		.amdhsa_float_denorm_mode_32 3
		.amdhsa_float_denorm_mode_16_64 3
		.amdhsa_dx10_clamp 1
		.amdhsa_ieee_mode 1
		.amdhsa_fp16_overflow 0
		.amdhsa_tg_split 0
		.amdhsa_exception_fp_ieee_invalid_op 0
		.amdhsa_exception_fp_denorm_src 0
		.amdhsa_exception_fp_ieee_div_zero 0
		.amdhsa_exception_fp_ieee_overflow 0
		.amdhsa_exception_fp_ieee_underflow 0
		.amdhsa_exception_fp_ieee_inexact 0
		.amdhsa_exception_int_div_zero 0
	.end_amdhsa_kernel
	.section	.text._Z20warp_exchange_kernelILj1024ELj4ELj16ELN6hipcub21WarpExchangeAlgorithmE0E18BlockedToStripedOp6__halfEvPT4_S5_,"axG",@progbits,_Z20warp_exchange_kernelILj1024ELj4ELj16ELN6hipcub21WarpExchangeAlgorithmE0E18BlockedToStripedOp6__halfEvPT4_S5_,comdat
.Lfunc_end87:
	.size	_Z20warp_exchange_kernelILj1024ELj4ELj16ELN6hipcub21WarpExchangeAlgorithmE0E18BlockedToStripedOp6__halfEvPT4_S5_, .Lfunc_end87-_Z20warp_exchange_kernelILj1024ELj4ELj16ELN6hipcub21WarpExchangeAlgorithmE0E18BlockedToStripedOp6__halfEvPT4_S5_
                                        ; -- End function
	.section	.AMDGPU.csdata,"",@progbits
; Kernel info:
; codeLenInByte = 156
; NumSgprs: 10
; NumVgprs: 5
; NumAgprs: 0
; TotalNumVgprs: 5
; ScratchSize: 0
; MemoryBound: 0
; FloatMode: 240
; IeeeMode: 1
; LDSByteSize: 8192 bytes/workgroup (compile time only)
; SGPRBlocks: 1
; VGPRBlocks: 0
; NumSGPRsForWavesPerEU: 10
; NumVGPRsForWavesPerEU: 5
; AccumOffset: 8
; Occupancy: 8
; WaveLimiterHint : 0
; COMPUTE_PGM_RSRC2:SCRATCH_EN: 0
; COMPUTE_PGM_RSRC2:USER_SGPR: 6
; COMPUTE_PGM_RSRC2:TRAP_HANDLER: 0
; COMPUTE_PGM_RSRC2:TGID_X_EN: 1
; COMPUTE_PGM_RSRC2:TGID_Y_EN: 0
; COMPUTE_PGM_RSRC2:TGID_Z_EN: 0
; COMPUTE_PGM_RSRC2:TIDIG_COMP_CNT: 0
; COMPUTE_PGM_RSRC3_GFX90A:ACCUM_OFFSET: 1
; COMPUTE_PGM_RSRC3_GFX90A:TG_SPLIT: 0
	.section	.text._Z20warp_exchange_kernelILj1024ELj1ELj16ELN6hipcub21WarpExchangeAlgorithmE0E18BlockedToStripedOp6__halfEvPT4_S5_,"axG",@progbits,_Z20warp_exchange_kernelILj1024ELj1ELj16ELN6hipcub21WarpExchangeAlgorithmE0E18BlockedToStripedOp6__halfEvPT4_S5_,comdat
	.protected	_Z20warp_exchange_kernelILj1024ELj1ELj16ELN6hipcub21WarpExchangeAlgorithmE0E18BlockedToStripedOp6__halfEvPT4_S5_ ; -- Begin function _Z20warp_exchange_kernelILj1024ELj1ELj16ELN6hipcub21WarpExchangeAlgorithmE0E18BlockedToStripedOp6__halfEvPT4_S5_
	.globl	_Z20warp_exchange_kernelILj1024ELj1ELj16ELN6hipcub21WarpExchangeAlgorithmE0E18BlockedToStripedOp6__halfEvPT4_S5_
	.p2align	8
	.type	_Z20warp_exchange_kernelILj1024ELj1ELj16ELN6hipcub21WarpExchangeAlgorithmE0E18BlockedToStripedOp6__halfEvPT4_S5_,@function
_Z20warp_exchange_kernelILj1024ELj1ELj16ELN6hipcub21WarpExchangeAlgorithmE0E18BlockedToStripedOp6__halfEvPT4_S5_: ; @_Z20warp_exchange_kernelILj1024ELj1ELj16ELN6hipcub21WarpExchangeAlgorithmE0E18BlockedToStripedOp6__halfEvPT4_S5_
; %bb.0:
	s_load_dwordx4 s[0:3], s[4:5], 0x0
	v_lshlrev_b32_e32 v0, 1, v0
	v_mbcnt_lo_u32_b32 v2, -1, 0
	v_mbcnt_hi_u32_b32 v2, -1, v2
	v_and_b32_e32 v2, 15, v2
	s_waitcnt lgkmcnt(0)
	global_load_ushort v1, v0, s[0:1]
	s_movk_i32 s0, 0x7e0
	v_lshlrev_b32_e32 v2, 1, v2
	v_and_or_b32 v2, v0, s0, v2
	s_waitcnt vmcnt(0)
	ds_write_b16 v2, v1
	; wave barrier
	ds_read_u16 v1, v2
	s_waitcnt lgkmcnt(0)
	global_store_short v0, v1, s[2:3]
	s_endpgm
	.section	.rodata,"a",@progbits
	.p2align	6, 0x0
	.amdhsa_kernel _Z20warp_exchange_kernelILj1024ELj1ELj16ELN6hipcub21WarpExchangeAlgorithmE0E18BlockedToStripedOp6__halfEvPT4_S5_
		.amdhsa_group_segment_fixed_size 2048
		.amdhsa_private_segment_fixed_size 0
		.amdhsa_kernarg_size 16
		.amdhsa_user_sgpr_count 6
		.amdhsa_user_sgpr_private_segment_buffer 1
		.amdhsa_user_sgpr_dispatch_ptr 0
		.amdhsa_user_sgpr_queue_ptr 0
		.amdhsa_user_sgpr_kernarg_segment_ptr 1
		.amdhsa_user_sgpr_dispatch_id 0
		.amdhsa_user_sgpr_flat_scratch_init 0
		.amdhsa_user_sgpr_kernarg_preload_length 0
		.amdhsa_user_sgpr_kernarg_preload_offset 0
		.amdhsa_user_sgpr_private_segment_size 0
		.amdhsa_uses_dynamic_stack 0
		.amdhsa_system_sgpr_private_segment_wavefront_offset 0
		.amdhsa_system_sgpr_workgroup_id_x 1
		.amdhsa_system_sgpr_workgroup_id_y 0
		.amdhsa_system_sgpr_workgroup_id_z 0
		.amdhsa_system_sgpr_workgroup_info 0
		.amdhsa_system_vgpr_workitem_id 0
		.amdhsa_next_free_vgpr 3
		.amdhsa_next_free_sgpr 6
		.amdhsa_accum_offset 4
		.amdhsa_reserve_vcc 0
		.amdhsa_reserve_flat_scratch 0
		.amdhsa_float_round_mode_32 0
		.amdhsa_float_round_mode_16_64 0
		.amdhsa_float_denorm_mode_32 3
		.amdhsa_float_denorm_mode_16_64 3
		.amdhsa_dx10_clamp 1
		.amdhsa_ieee_mode 1
		.amdhsa_fp16_overflow 0
		.amdhsa_tg_split 0
		.amdhsa_exception_fp_ieee_invalid_op 0
		.amdhsa_exception_fp_denorm_src 0
		.amdhsa_exception_fp_ieee_div_zero 0
		.amdhsa_exception_fp_ieee_overflow 0
		.amdhsa_exception_fp_ieee_underflow 0
		.amdhsa_exception_fp_ieee_inexact 0
		.amdhsa_exception_int_div_zero 0
	.end_amdhsa_kernel
	.section	.text._Z20warp_exchange_kernelILj1024ELj1ELj16ELN6hipcub21WarpExchangeAlgorithmE0E18BlockedToStripedOp6__halfEvPT4_S5_,"axG",@progbits,_Z20warp_exchange_kernelILj1024ELj1ELj16ELN6hipcub21WarpExchangeAlgorithmE0E18BlockedToStripedOp6__halfEvPT4_S5_,comdat
.Lfunc_end88:
	.size	_Z20warp_exchange_kernelILj1024ELj1ELj16ELN6hipcub21WarpExchangeAlgorithmE0E18BlockedToStripedOp6__halfEvPT4_S5_, .Lfunc_end88-_Z20warp_exchange_kernelILj1024ELj1ELj16ELN6hipcub21WarpExchangeAlgorithmE0E18BlockedToStripedOp6__halfEvPT4_S5_
                                        ; -- End function
	.section	.AMDGPU.csdata,"",@progbits
; Kernel info:
; codeLenInByte = 96
; NumSgprs: 10
; NumVgprs: 3
; NumAgprs: 0
; TotalNumVgprs: 3
; ScratchSize: 0
; MemoryBound: 0
; FloatMode: 240
; IeeeMode: 1
; LDSByteSize: 2048 bytes/workgroup (compile time only)
; SGPRBlocks: 1
; VGPRBlocks: 0
; NumSGPRsForWavesPerEU: 10
; NumVGPRsForWavesPerEU: 3
; AccumOffset: 4
; Occupancy: 8
; WaveLimiterHint : 0
; COMPUTE_PGM_RSRC2:SCRATCH_EN: 0
; COMPUTE_PGM_RSRC2:USER_SGPR: 6
; COMPUTE_PGM_RSRC2:TRAP_HANDLER: 0
; COMPUTE_PGM_RSRC2:TGID_X_EN: 1
; COMPUTE_PGM_RSRC2:TGID_Y_EN: 0
; COMPUTE_PGM_RSRC2:TGID_Z_EN: 0
; COMPUTE_PGM_RSRC2:TIDIG_COMP_CNT: 0
; COMPUTE_PGM_RSRC3_GFX90A:ACCUM_OFFSET: 0
; COMPUTE_PGM_RSRC3_GFX90A:TG_SPLIT: 0
	.section	.text._Z20warp_exchange_kernelILj1024ELj5ELj8ELN6hipcub21WarpExchangeAlgorithmE0E18BlockedToStripedOp6__halfEvPT4_S5_,"axG",@progbits,_Z20warp_exchange_kernelILj1024ELj5ELj8ELN6hipcub21WarpExchangeAlgorithmE0E18BlockedToStripedOp6__halfEvPT4_S5_,comdat
	.protected	_Z20warp_exchange_kernelILj1024ELj5ELj8ELN6hipcub21WarpExchangeAlgorithmE0E18BlockedToStripedOp6__halfEvPT4_S5_ ; -- Begin function _Z20warp_exchange_kernelILj1024ELj5ELj8ELN6hipcub21WarpExchangeAlgorithmE0E18BlockedToStripedOp6__halfEvPT4_S5_
	.globl	_Z20warp_exchange_kernelILj1024ELj5ELj8ELN6hipcub21WarpExchangeAlgorithmE0E18BlockedToStripedOp6__halfEvPT4_S5_
	.p2align	8
	.type	_Z20warp_exchange_kernelILj1024ELj5ELj8ELN6hipcub21WarpExchangeAlgorithmE0E18BlockedToStripedOp6__halfEvPT4_S5_,@function
_Z20warp_exchange_kernelILj1024ELj5ELj8ELN6hipcub21WarpExchangeAlgorithmE0E18BlockedToStripedOp6__halfEvPT4_S5_: ; @_Z20warp_exchange_kernelILj1024ELj5ELj8ELN6hipcub21WarpExchangeAlgorithmE0E18BlockedToStripedOp6__halfEvPT4_S5_
; %bb.0:
	s_load_dwordx4 s[0:3], s[4:5], 0x0
	v_mul_u32_u24_e32 v1, 5, v0
	v_lshlrev_b32_e32 v4, 1, v1
	v_mbcnt_lo_u32_b32 v5, -1, 0
	v_mbcnt_hi_u32_b32 v5, -1, v5
	s_waitcnt lgkmcnt(0)
	global_load_dwordx2 v[2:3], v4, s[0:1]
	global_load_ushort v1, v4, s[0:1] offset:8
	v_and_b32_e32 v5, 7, v5
	s_movk_i32 s0, 0x50
	v_lshrrev_b32_e32 v0, 3, v0
	v_mul_u32_u24_e32 v6, 10, v5
	v_lshlrev_b32_e32 v5, 3, v5
	v_mad_u32_u24 v0, v0, s0, v6
	v_sub_u32_e32 v5, v0, v5
	s_mov_b32 s0, 0x5040100
	s_waitcnt vmcnt(1)
	ds_write_b64 v0, v[2:3]
	s_waitcnt vmcnt(0)
	ds_write_b16 v0, v1 offset:8
	; wave barrier
	ds_read_u16 v0, v5 offset:32
	ds_read_u16 v1, v5 offset:48
	ds_read_u16 v2, v5
	ds_read_u16 v3, v5 offset:16
	ds_read_u16 v5, v5 offset:64
	s_waitcnt lgkmcnt(3)
	v_perm_b32 v1, v1, v0, s0
	s_waitcnt lgkmcnt(1)
	v_perm_b32 v0, v3, v2, s0
	s_waitcnt lgkmcnt(0)
	global_store_short v4, v5, s[2:3] offset:8
	global_store_dwordx2 v4, v[0:1], s[2:3]
	s_endpgm
	.section	.rodata,"a",@progbits
	.p2align	6, 0x0
	.amdhsa_kernel _Z20warp_exchange_kernelILj1024ELj5ELj8ELN6hipcub21WarpExchangeAlgorithmE0E18BlockedToStripedOp6__halfEvPT4_S5_
		.amdhsa_group_segment_fixed_size 10240
		.amdhsa_private_segment_fixed_size 0
		.amdhsa_kernarg_size 16
		.amdhsa_user_sgpr_count 6
		.amdhsa_user_sgpr_private_segment_buffer 1
		.amdhsa_user_sgpr_dispatch_ptr 0
		.amdhsa_user_sgpr_queue_ptr 0
		.amdhsa_user_sgpr_kernarg_segment_ptr 1
		.amdhsa_user_sgpr_dispatch_id 0
		.amdhsa_user_sgpr_flat_scratch_init 0
		.amdhsa_user_sgpr_kernarg_preload_length 0
		.amdhsa_user_sgpr_kernarg_preload_offset 0
		.amdhsa_user_sgpr_private_segment_size 0
		.amdhsa_uses_dynamic_stack 0
		.amdhsa_system_sgpr_private_segment_wavefront_offset 0
		.amdhsa_system_sgpr_workgroup_id_x 1
		.amdhsa_system_sgpr_workgroup_id_y 0
		.amdhsa_system_sgpr_workgroup_id_z 0
		.amdhsa_system_sgpr_workgroup_info 0
		.amdhsa_system_vgpr_workitem_id 0
		.amdhsa_next_free_vgpr 7
		.amdhsa_next_free_sgpr 6
		.amdhsa_accum_offset 8
		.amdhsa_reserve_vcc 0
		.amdhsa_reserve_flat_scratch 0
		.amdhsa_float_round_mode_32 0
		.amdhsa_float_round_mode_16_64 0
		.amdhsa_float_denorm_mode_32 3
		.amdhsa_float_denorm_mode_16_64 3
		.amdhsa_dx10_clamp 1
		.amdhsa_ieee_mode 1
		.amdhsa_fp16_overflow 0
		.amdhsa_tg_split 0
		.amdhsa_exception_fp_ieee_invalid_op 0
		.amdhsa_exception_fp_denorm_src 0
		.amdhsa_exception_fp_ieee_div_zero 0
		.amdhsa_exception_fp_ieee_overflow 0
		.amdhsa_exception_fp_ieee_underflow 0
		.amdhsa_exception_fp_ieee_inexact 0
		.amdhsa_exception_int_div_zero 0
	.end_amdhsa_kernel
	.section	.text._Z20warp_exchange_kernelILj1024ELj5ELj8ELN6hipcub21WarpExchangeAlgorithmE0E18BlockedToStripedOp6__halfEvPT4_S5_,"axG",@progbits,_Z20warp_exchange_kernelILj1024ELj5ELj8ELN6hipcub21WarpExchangeAlgorithmE0E18BlockedToStripedOp6__halfEvPT4_S5_,comdat
.Lfunc_end89:
	.size	_Z20warp_exchange_kernelILj1024ELj5ELj8ELN6hipcub21WarpExchangeAlgorithmE0E18BlockedToStripedOp6__halfEvPT4_S5_, .Lfunc_end89-_Z20warp_exchange_kernelILj1024ELj5ELj8ELN6hipcub21WarpExchangeAlgorithmE0E18BlockedToStripedOp6__halfEvPT4_S5_
                                        ; -- End function
	.section	.AMDGPU.csdata,"",@progbits
; Kernel info:
; codeLenInByte = 204
; NumSgprs: 10
; NumVgprs: 7
; NumAgprs: 0
; TotalNumVgprs: 7
; ScratchSize: 0
; MemoryBound: 0
; FloatMode: 240
; IeeeMode: 1
; LDSByteSize: 10240 bytes/workgroup (compile time only)
; SGPRBlocks: 1
; VGPRBlocks: 0
; NumSGPRsForWavesPerEU: 10
; NumVGPRsForWavesPerEU: 7
; AccumOffset: 8
; Occupancy: 8
; WaveLimiterHint : 0
; COMPUTE_PGM_RSRC2:SCRATCH_EN: 0
; COMPUTE_PGM_RSRC2:USER_SGPR: 6
; COMPUTE_PGM_RSRC2:TRAP_HANDLER: 0
; COMPUTE_PGM_RSRC2:TGID_X_EN: 1
; COMPUTE_PGM_RSRC2:TGID_Y_EN: 0
; COMPUTE_PGM_RSRC2:TGID_Z_EN: 0
; COMPUTE_PGM_RSRC2:TIDIG_COMP_CNT: 0
; COMPUTE_PGM_RSRC3_GFX90A:ACCUM_OFFSET: 1
; COMPUTE_PGM_RSRC3_GFX90A:TG_SPLIT: 0
	.section	.text._Z20warp_exchange_kernelILj1024ELj4ELj8ELN6hipcub21WarpExchangeAlgorithmE0E18BlockedToStripedOp6__halfEvPT4_S5_,"axG",@progbits,_Z20warp_exchange_kernelILj1024ELj4ELj8ELN6hipcub21WarpExchangeAlgorithmE0E18BlockedToStripedOp6__halfEvPT4_S5_,comdat
	.protected	_Z20warp_exchange_kernelILj1024ELj4ELj8ELN6hipcub21WarpExchangeAlgorithmE0E18BlockedToStripedOp6__halfEvPT4_S5_ ; -- Begin function _Z20warp_exchange_kernelILj1024ELj4ELj8ELN6hipcub21WarpExchangeAlgorithmE0E18BlockedToStripedOp6__halfEvPT4_S5_
	.globl	_Z20warp_exchange_kernelILj1024ELj4ELj8ELN6hipcub21WarpExchangeAlgorithmE0E18BlockedToStripedOp6__halfEvPT4_S5_
	.p2align	8
	.type	_Z20warp_exchange_kernelILj1024ELj4ELj8ELN6hipcub21WarpExchangeAlgorithmE0E18BlockedToStripedOp6__halfEvPT4_S5_,@function
_Z20warp_exchange_kernelILj1024ELj4ELj8ELN6hipcub21WarpExchangeAlgorithmE0E18BlockedToStripedOp6__halfEvPT4_S5_: ; @_Z20warp_exchange_kernelILj1024ELj4ELj8ELN6hipcub21WarpExchangeAlgorithmE0E18BlockedToStripedOp6__halfEvPT4_S5_
; %bb.0:
	s_load_dwordx4 s[0:3], s[4:5], 0x0
	v_lshlrev_b32_e32 v2, 3, v0
	v_mbcnt_lo_u32_b32 v3, -1, 0
	v_mbcnt_hi_u32_b32 v3, -1, v3
	v_and_b32_e32 v3, 7, v3
	s_waitcnt lgkmcnt(0)
	global_load_dwordx2 v[0:1], v2, s[0:1]
	s_movk_i32 s0, 0x1fc0
	v_lshlrev_b32_e32 v4, 3, v3
	v_and_or_b32 v4, v2, s0, v4
	v_mad_i32_i24 v3, v3, -6, v4
	s_mov_b32 s0, 0x5040100
	s_waitcnt vmcnt(0)
	ds_write_b64 v4, v[0:1]
	; wave barrier
	ds_read_u16 v0, v3 offset:32
	ds_read_u16 v1, v3 offset:48
	ds_read_u16 v4, v3
	ds_read_u16 v3, v3 offset:16
	s_waitcnt lgkmcnt(2)
	v_perm_b32 v1, v1, v0, s0
	s_waitcnt lgkmcnt(0)
	v_perm_b32 v0, v3, v4, s0
	global_store_dwordx2 v2, v[0:1], s[2:3]
	s_endpgm
	.section	.rodata,"a",@progbits
	.p2align	6, 0x0
	.amdhsa_kernel _Z20warp_exchange_kernelILj1024ELj4ELj8ELN6hipcub21WarpExchangeAlgorithmE0E18BlockedToStripedOp6__halfEvPT4_S5_
		.amdhsa_group_segment_fixed_size 8192
		.amdhsa_private_segment_fixed_size 0
		.amdhsa_kernarg_size 16
		.amdhsa_user_sgpr_count 6
		.amdhsa_user_sgpr_private_segment_buffer 1
		.amdhsa_user_sgpr_dispatch_ptr 0
		.amdhsa_user_sgpr_queue_ptr 0
		.amdhsa_user_sgpr_kernarg_segment_ptr 1
		.amdhsa_user_sgpr_dispatch_id 0
		.amdhsa_user_sgpr_flat_scratch_init 0
		.amdhsa_user_sgpr_kernarg_preload_length 0
		.amdhsa_user_sgpr_kernarg_preload_offset 0
		.amdhsa_user_sgpr_private_segment_size 0
		.amdhsa_uses_dynamic_stack 0
		.amdhsa_system_sgpr_private_segment_wavefront_offset 0
		.amdhsa_system_sgpr_workgroup_id_x 1
		.amdhsa_system_sgpr_workgroup_id_y 0
		.amdhsa_system_sgpr_workgroup_id_z 0
		.amdhsa_system_sgpr_workgroup_info 0
		.amdhsa_system_vgpr_workitem_id 0
		.amdhsa_next_free_vgpr 5
		.amdhsa_next_free_sgpr 6
		.amdhsa_accum_offset 8
		.amdhsa_reserve_vcc 0
		.amdhsa_reserve_flat_scratch 0
		.amdhsa_float_round_mode_32 0
		.amdhsa_float_round_mode_16_64 0
		.amdhsa_float_denorm_mode_32 3
		.amdhsa_float_denorm_mode_16_64 3
		.amdhsa_dx10_clamp 1
		.amdhsa_ieee_mode 1
		.amdhsa_fp16_overflow 0
		.amdhsa_tg_split 0
		.amdhsa_exception_fp_ieee_invalid_op 0
		.amdhsa_exception_fp_denorm_src 0
		.amdhsa_exception_fp_ieee_div_zero 0
		.amdhsa_exception_fp_ieee_overflow 0
		.amdhsa_exception_fp_ieee_underflow 0
		.amdhsa_exception_fp_ieee_inexact 0
		.amdhsa_exception_int_div_zero 0
	.end_amdhsa_kernel
	.section	.text._Z20warp_exchange_kernelILj1024ELj4ELj8ELN6hipcub21WarpExchangeAlgorithmE0E18BlockedToStripedOp6__halfEvPT4_S5_,"axG",@progbits,_Z20warp_exchange_kernelILj1024ELj4ELj8ELN6hipcub21WarpExchangeAlgorithmE0E18BlockedToStripedOp6__halfEvPT4_S5_,comdat
.Lfunc_end90:
	.size	_Z20warp_exchange_kernelILj1024ELj4ELj8ELN6hipcub21WarpExchangeAlgorithmE0E18BlockedToStripedOp6__halfEvPT4_S5_, .Lfunc_end90-_Z20warp_exchange_kernelILj1024ELj4ELj8ELN6hipcub21WarpExchangeAlgorithmE0E18BlockedToStripedOp6__halfEvPT4_S5_
                                        ; -- End function
	.section	.AMDGPU.csdata,"",@progbits
; Kernel info:
; codeLenInByte = 156
; NumSgprs: 10
; NumVgprs: 5
; NumAgprs: 0
; TotalNumVgprs: 5
; ScratchSize: 0
; MemoryBound: 0
; FloatMode: 240
; IeeeMode: 1
; LDSByteSize: 8192 bytes/workgroup (compile time only)
; SGPRBlocks: 1
; VGPRBlocks: 0
; NumSGPRsForWavesPerEU: 10
; NumVGPRsForWavesPerEU: 5
; AccumOffset: 8
; Occupancy: 8
; WaveLimiterHint : 0
; COMPUTE_PGM_RSRC2:SCRATCH_EN: 0
; COMPUTE_PGM_RSRC2:USER_SGPR: 6
; COMPUTE_PGM_RSRC2:TRAP_HANDLER: 0
; COMPUTE_PGM_RSRC2:TGID_X_EN: 1
; COMPUTE_PGM_RSRC2:TGID_Y_EN: 0
; COMPUTE_PGM_RSRC2:TGID_Z_EN: 0
; COMPUTE_PGM_RSRC2:TIDIG_COMP_CNT: 0
; COMPUTE_PGM_RSRC3_GFX90A:ACCUM_OFFSET: 1
; COMPUTE_PGM_RSRC3_GFX90A:TG_SPLIT: 0
	.section	.text._Z20warp_exchange_kernelILj1024ELj1ELj8ELN6hipcub21WarpExchangeAlgorithmE0E18BlockedToStripedOp6__halfEvPT4_S5_,"axG",@progbits,_Z20warp_exchange_kernelILj1024ELj1ELj8ELN6hipcub21WarpExchangeAlgorithmE0E18BlockedToStripedOp6__halfEvPT4_S5_,comdat
	.protected	_Z20warp_exchange_kernelILj1024ELj1ELj8ELN6hipcub21WarpExchangeAlgorithmE0E18BlockedToStripedOp6__halfEvPT4_S5_ ; -- Begin function _Z20warp_exchange_kernelILj1024ELj1ELj8ELN6hipcub21WarpExchangeAlgorithmE0E18BlockedToStripedOp6__halfEvPT4_S5_
	.globl	_Z20warp_exchange_kernelILj1024ELj1ELj8ELN6hipcub21WarpExchangeAlgorithmE0E18BlockedToStripedOp6__halfEvPT4_S5_
	.p2align	8
	.type	_Z20warp_exchange_kernelILj1024ELj1ELj8ELN6hipcub21WarpExchangeAlgorithmE0E18BlockedToStripedOp6__halfEvPT4_S5_,@function
_Z20warp_exchange_kernelILj1024ELj1ELj8ELN6hipcub21WarpExchangeAlgorithmE0E18BlockedToStripedOp6__halfEvPT4_S5_: ; @_Z20warp_exchange_kernelILj1024ELj1ELj8ELN6hipcub21WarpExchangeAlgorithmE0E18BlockedToStripedOp6__halfEvPT4_S5_
; %bb.0:
	s_load_dwordx4 s[0:3], s[4:5], 0x0
	v_lshlrev_b32_e32 v0, 1, v0
	v_mbcnt_lo_u32_b32 v2, -1, 0
	v_mbcnt_hi_u32_b32 v2, -1, v2
	v_and_b32_e32 v2, 7, v2
	s_waitcnt lgkmcnt(0)
	global_load_ushort v1, v0, s[0:1]
	s_movk_i32 s0, 0x7f0
	v_lshlrev_b32_e32 v2, 1, v2
	v_and_or_b32 v2, v0, s0, v2
	s_waitcnt vmcnt(0)
	ds_write_b16 v2, v1
	; wave barrier
	ds_read_u16 v1, v2
	s_waitcnt lgkmcnt(0)
	global_store_short v0, v1, s[2:3]
	s_endpgm
	.section	.rodata,"a",@progbits
	.p2align	6, 0x0
	.amdhsa_kernel _Z20warp_exchange_kernelILj1024ELj1ELj8ELN6hipcub21WarpExchangeAlgorithmE0E18BlockedToStripedOp6__halfEvPT4_S5_
		.amdhsa_group_segment_fixed_size 2048
		.amdhsa_private_segment_fixed_size 0
		.amdhsa_kernarg_size 16
		.amdhsa_user_sgpr_count 6
		.amdhsa_user_sgpr_private_segment_buffer 1
		.amdhsa_user_sgpr_dispatch_ptr 0
		.amdhsa_user_sgpr_queue_ptr 0
		.amdhsa_user_sgpr_kernarg_segment_ptr 1
		.amdhsa_user_sgpr_dispatch_id 0
		.amdhsa_user_sgpr_flat_scratch_init 0
		.amdhsa_user_sgpr_kernarg_preload_length 0
		.amdhsa_user_sgpr_kernarg_preload_offset 0
		.amdhsa_user_sgpr_private_segment_size 0
		.amdhsa_uses_dynamic_stack 0
		.amdhsa_system_sgpr_private_segment_wavefront_offset 0
		.amdhsa_system_sgpr_workgroup_id_x 1
		.amdhsa_system_sgpr_workgroup_id_y 0
		.amdhsa_system_sgpr_workgroup_id_z 0
		.amdhsa_system_sgpr_workgroup_info 0
		.amdhsa_system_vgpr_workitem_id 0
		.amdhsa_next_free_vgpr 3
		.amdhsa_next_free_sgpr 6
		.amdhsa_accum_offset 4
		.amdhsa_reserve_vcc 0
		.amdhsa_reserve_flat_scratch 0
		.amdhsa_float_round_mode_32 0
		.amdhsa_float_round_mode_16_64 0
		.amdhsa_float_denorm_mode_32 3
		.amdhsa_float_denorm_mode_16_64 3
		.amdhsa_dx10_clamp 1
		.amdhsa_ieee_mode 1
		.amdhsa_fp16_overflow 0
		.amdhsa_tg_split 0
		.amdhsa_exception_fp_ieee_invalid_op 0
		.amdhsa_exception_fp_denorm_src 0
		.amdhsa_exception_fp_ieee_div_zero 0
		.amdhsa_exception_fp_ieee_overflow 0
		.amdhsa_exception_fp_ieee_underflow 0
		.amdhsa_exception_fp_ieee_inexact 0
		.amdhsa_exception_int_div_zero 0
	.end_amdhsa_kernel
	.section	.text._Z20warp_exchange_kernelILj1024ELj1ELj8ELN6hipcub21WarpExchangeAlgorithmE0E18BlockedToStripedOp6__halfEvPT4_S5_,"axG",@progbits,_Z20warp_exchange_kernelILj1024ELj1ELj8ELN6hipcub21WarpExchangeAlgorithmE0E18BlockedToStripedOp6__halfEvPT4_S5_,comdat
.Lfunc_end91:
	.size	_Z20warp_exchange_kernelILj1024ELj1ELj8ELN6hipcub21WarpExchangeAlgorithmE0E18BlockedToStripedOp6__halfEvPT4_S5_, .Lfunc_end91-_Z20warp_exchange_kernelILj1024ELj1ELj8ELN6hipcub21WarpExchangeAlgorithmE0E18BlockedToStripedOp6__halfEvPT4_S5_
                                        ; -- End function
	.section	.AMDGPU.csdata,"",@progbits
; Kernel info:
; codeLenInByte = 96
; NumSgprs: 10
; NumVgprs: 3
; NumAgprs: 0
; TotalNumVgprs: 3
; ScratchSize: 0
; MemoryBound: 0
; FloatMode: 240
; IeeeMode: 1
; LDSByteSize: 2048 bytes/workgroup (compile time only)
; SGPRBlocks: 1
; VGPRBlocks: 0
; NumSGPRsForWavesPerEU: 10
; NumVGPRsForWavesPerEU: 3
; AccumOffset: 4
; Occupancy: 8
; WaveLimiterHint : 0
; COMPUTE_PGM_RSRC2:SCRATCH_EN: 0
; COMPUTE_PGM_RSRC2:USER_SGPR: 6
; COMPUTE_PGM_RSRC2:TRAP_HANDLER: 0
; COMPUTE_PGM_RSRC2:TGID_X_EN: 1
; COMPUTE_PGM_RSRC2:TGID_Y_EN: 0
; COMPUTE_PGM_RSRC2:TGID_Z_EN: 0
; COMPUTE_PGM_RSRC2:TIDIG_COMP_CNT: 0
; COMPUTE_PGM_RSRC3_GFX90A:ACCUM_OFFSET: 0
; COMPUTE_PGM_RSRC3_GFX90A:TG_SPLIT: 0
	.section	.text._Z20warp_exchange_kernelILj1024ELj5ELj64ELN6hipcub21WarpExchangeAlgorithmE0E18BlockedToStripedOpdEvPT4_S4_,"axG",@progbits,_Z20warp_exchange_kernelILj1024ELj5ELj64ELN6hipcub21WarpExchangeAlgorithmE0E18BlockedToStripedOpdEvPT4_S4_,comdat
	.protected	_Z20warp_exchange_kernelILj1024ELj5ELj64ELN6hipcub21WarpExchangeAlgorithmE0E18BlockedToStripedOpdEvPT4_S4_ ; -- Begin function _Z20warp_exchange_kernelILj1024ELj5ELj64ELN6hipcub21WarpExchangeAlgorithmE0E18BlockedToStripedOpdEvPT4_S4_
	.globl	_Z20warp_exchange_kernelILj1024ELj5ELj64ELN6hipcub21WarpExchangeAlgorithmE0E18BlockedToStripedOpdEvPT4_S4_
	.p2align	8
	.type	_Z20warp_exchange_kernelILj1024ELj5ELj64ELN6hipcub21WarpExchangeAlgorithmE0E18BlockedToStripedOpdEvPT4_S4_,@function
_Z20warp_exchange_kernelILj1024ELj5ELj64ELN6hipcub21WarpExchangeAlgorithmE0E18BlockedToStripedOpdEvPT4_S4_: ; @_Z20warp_exchange_kernelILj1024ELj5ELj64ELN6hipcub21WarpExchangeAlgorithmE0E18BlockedToStripedOpdEvPT4_S4_
; %bb.0:
	s_load_dwordx4 s[0:3], s[4:5], 0x0
	v_mul_u32_u24_e32 v1, 5, v0
	v_lshlrev_b32_e32 v12, 3, v1
	v_mbcnt_lo_u32_b32 v1, -1, 0
	v_mbcnt_hi_u32_b32 v1, -1, v1
	s_waitcnt lgkmcnt(0)
	global_load_dwordx4 v[2:5], v12, s[0:1]
	global_load_dwordx4 v[6:9], v12, s[0:1] offset:16
	global_load_dwordx2 v[10:11], v12, s[0:1] offset:32
	s_movk_i32 s0, 0xa00
	v_lshrrev_b32_e32 v0, 6, v0
	v_mul_u32_u24_e32 v13, 40, v1
	v_lshlrev_b32_e32 v1, 3, v1
	v_mad_u32_u24 v13, v0, s0, v13
	v_mad_u32_u24 v14, v0, s0, v1
	s_waitcnt vmcnt(2)
	ds_write2_b64 v13, v[2:3], v[4:5] offset1:1
	s_waitcnt vmcnt(1)
	ds_write2_b64 v13, v[6:7], v[8:9] offset0:2 offset1:3
	s_waitcnt vmcnt(0)
	ds_write_b64 v13, v[10:11] offset:32
	; wave barrier
	ds_read2st64_b64 v[0:3], v14 offset1:1
	ds_read2st64_b64 v[4:7], v14 offset0:2 offset1:3
	ds_read_b64 v[8:9], v14 offset:2048
	s_waitcnt lgkmcnt(2)
	global_store_dwordx4 v12, v[0:3], s[2:3]
	s_waitcnt lgkmcnt(1)
	global_store_dwordx4 v12, v[4:7], s[2:3] offset:16
	s_waitcnt lgkmcnt(0)
	global_store_dwordx2 v12, v[8:9], s[2:3] offset:32
	s_endpgm
	.section	.rodata,"a",@progbits
	.p2align	6, 0x0
	.amdhsa_kernel _Z20warp_exchange_kernelILj1024ELj5ELj64ELN6hipcub21WarpExchangeAlgorithmE0E18BlockedToStripedOpdEvPT4_S4_
		.amdhsa_group_segment_fixed_size 40960
		.amdhsa_private_segment_fixed_size 0
		.amdhsa_kernarg_size 16
		.amdhsa_user_sgpr_count 6
		.amdhsa_user_sgpr_private_segment_buffer 1
		.amdhsa_user_sgpr_dispatch_ptr 0
		.amdhsa_user_sgpr_queue_ptr 0
		.amdhsa_user_sgpr_kernarg_segment_ptr 1
		.amdhsa_user_sgpr_dispatch_id 0
		.amdhsa_user_sgpr_flat_scratch_init 0
		.amdhsa_user_sgpr_kernarg_preload_length 0
		.amdhsa_user_sgpr_kernarg_preload_offset 0
		.amdhsa_user_sgpr_private_segment_size 0
		.amdhsa_uses_dynamic_stack 0
		.amdhsa_system_sgpr_private_segment_wavefront_offset 0
		.amdhsa_system_sgpr_workgroup_id_x 1
		.amdhsa_system_sgpr_workgroup_id_y 0
		.amdhsa_system_sgpr_workgroup_id_z 0
		.amdhsa_system_sgpr_workgroup_info 0
		.amdhsa_system_vgpr_workitem_id 0
		.amdhsa_next_free_vgpr 15
		.amdhsa_next_free_sgpr 6
		.amdhsa_accum_offset 16
		.amdhsa_reserve_vcc 0
		.amdhsa_reserve_flat_scratch 0
		.amdhsa_float_round_mode_32 0
		.amdhsa_float_round_mode_16_64 0
		.amdhsa_float_denorm_mode_32 3
		.amdhsa_float_denorm_mode_16_64 3
		.amdhsa_dx10_clamp 1
		.amdhsa_ieee_mode 1
		.amdhsa_fp16_overflow 0
		.amdhsa_tg_split 0
		.amdhsa_exception_fp_ieee_invalid_op 0
		.amdhsa_exception_fp_denorm_src 0
		.amdhsa_exception_fp_ieee_div_zero 0
		.amdhsa_exception_fp_ieee_overflow 0
		.amdhsa_exception_fp_ieee_underflow 0
		.amdhsa_exception_fp_ieee_inexact 0
		.amdhsa_exception_int_div_zero 0
	.end_amdhsa_kernel
	.section	.text._Z20warp_exchange_kernelILj1024ELj5ELj64ELN6hipcub21WarpExchangeAlgorithmE0E18BlockedToStripedOpdEvPT4_S4_,"axG",@progbits,_Z20warp_exchange_kernelILj1024ELj5ELj64ELN6hipcub21WarpExchangeAlgorithmE0E18BlockedToStripedOpdEvPT4_S4_,comdat
.Lfunc_end92:
	.size	_Z20warp_exchange_kernelILj1024ELj5ELj64ELN6hipcub21WarpExchangeAlgorithmE0E18BlockedToStripedOpdEvPT4_S4_, .Lfunc_end92-_Z20warp_exchange_kernelILj1024ELj5ELj64ELN6hipcub21WarpExchangeAlgorithmE0E18BlockedToStripedOpdEvPT4_S4_
                                        ; -- End function
	.section	.AMDGPU.csdata,"",@progbits
; Kernel info:
; codeLenInByte = 192
; NumSgprs: 10
; NumVgprs: 15
; NumAgprs: 0
; TotalNumVgprs: 15
; ScratchSize: 0
; MemoryBound: 1
; FloatMode: 240
; IeeeMode: 1
; LDSByteSize: 40960 bytes/workgroup (compile time only)
; SGPRBlocks: 1
; VGPRBlocks: 1
; NumSGPRsForWavesPerEU: 10
; NumVGPRsForWavesPerEU: 15
; AccumOffset: 16
; Occupancy: 4
; WaveLimiterHint : 1
; COMPUTE_PGM_RSRC2:SCRATCH_EN: 0
; COMPUTE_PGM_RSRC2:USER_SGPR: 6
; COMPUTE_PGM_RSRC2:TRAP_HANDLER: 0
; COMPUTE_PGM_RSRC2:TGID_X_EN: 1
; COMPUTE_PGM_RSRC2:TGID_Y_EN: 0
; COMPUTE_PGM_RSRC2:TGID_Z_EN: 0
; COMPUTE_PGM_RSRC2:TIDIG_COMP_CNT: 0
; COMPUTE_PGM_RSRC3_GFX90A:ACCUM_OFFSET: 3
; COMPUTE_PGM_RSRC3_GFX90A:TG_SPLIT: 0
	.section	.text._Z20warp_exchange_kernelILj1024ELj4ELj64ELN6hipcub21WarpExchangeAlgorithmE0E18BlockedToStripedOpdEvPT4_S4_,"axG",@progbits,_Z20warp_exchange_kernelILj1024ELj4ELj64ELN6hipcub21WarpExchangeAlgorithmE0E18BlockedToStripedOpdEvPT4_S4_,comdat
	.protected	_Z20warp_exchange_kernelILj1024ELj4ELj64ELN6hipcub21WarpExchangeAlgorithmE0E18BlockedToStripedOpdEvPT4_S4_ ; -- Begin function _Z20warp_exchange_kernelILj1024ELj4ELj64ELN6hipcub21WarpExchangeAlgorithmE0E18BlockedToStripedOpdEvPT4_S4_
	.globl	_Z20warp_exchange_kernelILj1024ELj4ELj64ELN6hipcub21WarpExchangeAlgorithmE0E18BlockedToStripedOpdEvPT4_S4_
	.p2align	8
	.type	_Z20warp_exchange_kernelILj1024ELj4ELj64ELN6hipcub21WarpExchangeAlgorithmE0E18BlockedToStripedOpdEvPT4_S4_,@function
_Z20warp_exchange_kernelILj1024ELj4ELj64ELN6hipcub21WarpExchangeAlgorithmE0E18BlockedToStripedOpdEvPT4_S4_: ; @_Z20warp_exchange_kernelILj1024ELj4ELj64ELN6hipcub21WarpExchangeAlgorithmE0E18BlockedToStripedOpdEvPT4_S4_
; %bb.0:
	s_load_dwordx4 s[0:3], s[4:5], 0x0
	v_lshlrev_b32_e32 v8, 5, v0
	v_mbcnt_lo_u32_b32 v9, -1, 0
	v_mbcnt_hi_u32_b32 v9, -1, v9
	v_and_b32_e32 v10, 0x7800, v8
	s_waitcnt lgkmcnt(0)
	global_load_dwordx4 v[0:3], v8, s[0:1]
	global_load_dwordx4 v[4:7], v8, s[0:1] offset:16
	v_lshl_add_u32 v11, v9, 5, v10
	v_lshl_or_b32 v9, v9, 3, v10
	s_waitcnt vmcnt(1)
	ds_write_b128 v11, v[0:3]
	s_waitcnt vmcnt(0)
	ds_write_b128 v11, v[4:7] offset:16
	; wave barrier
	ds_read2st64_b64 v[0:3], v9 offset1:1
	ds_read2st64_b64 v[4:7], v9 offset0:2 offset1:3
	s_waitcnt lgkmcnt(1)
	global_store_dwordx4 v8, v[0:3], s[2:3]
	s_waitcnt lgkmcnt(0)
	global_store_dwordx4 v8, v[4:7], s[2:3] offset:16
	s_endpgm
	.section	.rodata,"a",@progbits
	.p2align	6, 0x0
	.amdhsa_kernel _Z20warp_exchange_kernelILj1024ELj4ELj64ELN6hipcub21WarpExchangeAlgorithmE0E18BlockedToStripedOpdEvPT4_S4_
		.amdhsa_group_segment_fixed_size 32768
		.amdhsa_private_segment_fixed_size 0
		.amdhsa_kernarg_size 16
		.amdhsa_user_sgpr_count 6
		.amdhsa_user_sgpr_private_segment_buffer 1
		.amdhsa_user_sgpr_dispatch_ptr 0
		.amdhsa_user_sgpr_queue_ptr 0
		.amdhsa_user_sgpr_kernarg_segment_ptr 1
		.amdhsa_user_sgpr_dispatch_id 0
		.amdhsa_user_sgpr_flat_scratch_init 0
		.amdhsa_user_sgpr_kernarg_preload_length 0
		.amdhsa_user_sgpr_kernarg_preload_offset 0
		.amdhsa_user_sgpr_private_segment_size 0
		.amdhsa_uses_dynamic_stack 0
		.amdhsa_system_sgpr_private_segment_wavefront_offset 0
		.amdhsa_system_sgpr_workgroup_id_x 1
		.amdhsa_system_sgpr_workgroup_id_y 0
		.amdhsa_system_sgpr_workgroup_id_z 0
		.amdhsa_system_sgpr_workgroup_info 0
		.amdhsa_system_vgpr_workitem_id 0
		.amdhsa_next_free_vgpr 12
		.amdhsa_next_free_sgpr 6
		.amdhsa_accum_offset 12
		.amdhsa_reserve_vcc 0
		.amdhsa_reserve_flat_scratch 0
		.amdhsa_float_round_mode_32 0
		.amdhsa_float_round_mode_16_64 0
		.amdhsa_float_denorm_mode_32 3
		.amdhsa_float_denorm_mode_16_64 3
		.amdhsa_dx10_clamp 1
		.amdhsa_ieee_mode 1
		.amdhsa_fp16_overflow 0
		.amdhsa_tg_split 0
		.amdhsa_exception_fp_ieee_invalid_op 0
		.amdhsa_exception_fp_denorm_src 0
		.amdhsa_exception_fp_ieee_div_zero 0
		.amdhsa_exception_fp_ieee_overflow 0
		.amdhsa_exception_fp_ieee_underflow 0
		.amdhsa_exception_fp_ieee_inexact 0
		.amdhsa_exception_int_div_zero 0
	.end_amdhsa_kernel
	.section	.text._Z20warp_exchange_kernelILj1024ELj4ELj64ELN6hipcub21WarpExchangeAlgorithmE0E18BlockedToStripedOpdEvPT4_S4_,"axG",@progbits,_Z20warp_exchange_kernelILj1024ELj4ELj64ELN6hipcub21WarpExchangeAlgorithmE0E18BlockedToStripedOpdEvPT4_S4_,comdat
.Lfunc_end93:
	.size	_Z20warp_exchange_kernelILj1024ELj4ELj64ELN6hipcub21WarpExchangeAlgorithmE0E18BlockedToStripedOpdEvPT4_S4_, .Lfunc_end93-_Z20warp_exchange_kernelILj1024ELj4ELj64ELN6hipcub21WarpExchangeAlgorithmE0E18BlockedToStripedOpdEvPT4_S4_
                                        ; -- End function
	.section	.AMDGPU.csdata,"",@progbits
; Kernel info:
; codeLenInByte = 140
; NumSgprs: 10
; NumVgprs: 12
; NumAgprs: 0
; TotalNumVgprs: 12
; ScratchSize: 0
; MemoryBound: 1
; FloatMode: 240
; IeeeMode: 1
; LDSByteSize: 32768 bytes/workgroup (compile time only)
; SGPRBlocks: 1
; VGPRBlocks: 1
; NumSGPRsForWavesPerEU: 10
; NumVGPRsForWavesPerEU: 12
; AccumOffset: 12
; Occupancy: 8
; WaveLimiterHint : 1
; COMPUTE_PGM_RSRC2:SCRATCH_EN: 0
; COMPUTE_PGM_RSRC2:USER_SGPR: 6
; COMPUTE_PGM_RSRC2:TRAP_HANDLER: 0
; COMPUTE_PGM_RSRC2:TGID_X_EN: 1
; COMPUTE_PGM_RSRC2:TGID_Y_EN: 0
; COMPUTE_PGM_RSRC2:TGID_Z_EN: 0
; COMPUTE_PGM_RSRC2:TIDIG_COMP_CNT: 0
; COMPUTE_PGM_RSRC3_GFX90A:ACCUM_OFFSET: 2
; COMPUTE_PGM_RSRC3_GFX90A:TG_SPLIT: 0
	.section	.text._Z20warp_exchange_kernelILj1024ELj1ELj64ELN6hipcub21WarpExchangeAlgorithmE0E18BlockedToStripedOpdEvPT4_S4_,"axG",@progbits,_Z20warp_exchange_kernelILj1024ELj1ELj64ELN6hipcub21WarpExchangeAlgorithmE0E18BlockedToStripedOpdEvPT4_S4_,comdat
	.protected	_Z20warp_exchange_kernelILj1024ELj1ELj64ELN6hipcub21WarpExchangeAlgorithmE0E18BlockedToStripedOpdEvPT4_S4_ ; -- Begin function _Z20warp_exchange_kernelILj1024ELj1ELj64ELN6hipcub21WarpExchangeAlgorithmE0E18BlockedToStripedOpdEvPT4_S4_
	.globl	_Z20warp_exchange_kernelILj1024ELj1ELj64ELN6hipcub21WarpExchangeAlgorithmE0E18BlockedToStripedOpdEvPT4_S4_
	.p2align	8
	.type	_Z20warp_exchange_kernelILj1024ELj1ELj64ELN6hipcub21WarpExchangeAlgorithmE0E18BlockedToStripedOpdEvPT4_S4_,@function
_Z20warp_exchange_kernelILj1024ELj1ELj64ELN6hipcub21WarpExchangeAlgorithmE0E18BlockedToStripedOpdEvPT4_S4_: ; @_Z20warp_exchange_kernelILj1024ELj1ELj64ELN6hipcub21WarpExchangeAlgorithmE0E18BlockedToStripedOpdEvPT4_S4_
; %bb.0:
	s_load_dwordx4 s[0:3], s[4:5], 0x0
	v_lshlrev_b32_e32 v2, 3, v0
	v_mbcnt_lo_u32_b32 v3, -1, 0
	v_mbcnt_hi_u32_b32 v3, -1, v3
	v_and_b32_e32 v4, 0x1e00, v2
	s_waitcnt lgkmcnt(0)
	global_load_dwordx2 v[0:1], v2, s[0:1]
	v_lshl_add_u32 v3, v3, 3, v4
	s_waitcnt vmcnt(0)
	ds_write_b64 v3, v[0:1]
	; wave barrier
	ds_read_b64 v[0:1], v3
	s_waitcnt lgkmcnt(0)
	global_store_dwordx2 v2, v[0:1], s[2:3]
	s_endpgm
	.section	.rodata,"a",@progbits
	.p2align	6, 0x0
	.amdhsa_kernel _Z20warp_exchange_kernelILj1024ELj1ELj64ELN6hipcub21WarpExchangeAlgorithmE0E18BlockedToStripedOpdEvPT4_S4_
		.amdhsa_group_segment_fixed_size 8192
		.amdhsa_private_segment_fixed_size 0
		.amdhsa_kernarg_size 16
		.amdhsa_user_sgpr_count 6
		.amdhsa_user_sgpr_private_segment_buffer 1
		.amdhsa_user_sgpr_dispatch_ptr 0
		.amdhsa_user_sgpr_queue_ptr 0
		.amdhsa_user_sgpr_kernarg_segment_ptr 1
		.amdhsa_user_sgpr_dispatch_id 0
		.amdhsa_user_sgpr_flat_scratch_init 0
		.amdhsa_user_sgpr_kernarg_preload_length 0
		.amdhsa_user_sgpr_kernarg_preload_offset 0
		.amdhsa_user_sgpr_private_segment_size 0
		.amdhsa_uses_dynamic_stack 0
		.amdhsa_system_sgpr_private_segment_wavefront_offset 0
		.amdhsa_system_sgpr_workgroup_id_x 1
		.amdhsa_system_sgpr_workgroup_id_y 0
		.amdhsa_system_sgpr_workgroup_id_z 0
		.amdhsa_system_sgpr_workgroup_info 0
		.amdhsa_system_vgpr_workitem_id 0
		.amdhsa_next_free_vgpr 5
		.amdhsa_next_free_sgpr 6
		.amdhsa_accum_offset 8
		.amdhsa_reserve_vcc 0
		.amdhsa_reserve_flat_scratch 0
		.amdhsa_float_round_mode_32 0
		.amdhsa_float_round_mode_16_64 0
		.amdhsa_float_denorm_mode_32 3
		.amdhsa_float_denorm_mode_16_64 3
		.amdhsa_dx10_clamp 1
		.amdhsa_ieee_mode 1
		.amdhsa_fp16_overflow 0
		.amdhsa_tg_split 0
		.amdhsa_exception_fp_ieee_invalid_op 0
		.amdhsa_exception_fp_denorm_src 0
		.amdhsa_exception_fp_ieee_div_zero 0
		.amdhsa_exception_fp_ieee_overflow 0
		.amdhsa_exception_fp_ieee_underflow 0
		.amdhsa_exception_fp_ieee_inexact 0
		.amdhsa_exception_int_div_zero 0
	.end_amdhsa_kernel
	.section	.text._Z20warp_exchange_kernelILj1024ELj1ELj64ELN6hipcub21WarpExchangeAlgorithmE0E18BlockedToStripedOpdEvPT4_S4_,"axG",@progbits,_Z20warp_exchange_kernelILj1024ELj1ELj64ELN6hipcub21WarpExchangeAlgorithmE0E18BlockedToStripedOpdEvPT4_S4_,comdat
.Lfunc_end94:
	.size	_Z20warp_exchange_kernelILj1024ELj1ELj64ELN6hipcub21WarpExchangeAlgorithmE0E18BlockedToStripedOpdEvPT4_S4_, .Lfunc_end94-_Z20warp_exchange_kernelILj1024ELj1ELj64ELN6hipcub21WarpExchangeAlgorithmE0E18BlockedToStripedOpdEvPT4_S4_
                                        ; -- End function
	.section	.AMDGPU.csdata,"",@progbits
; Kernel info:
; codeLenInByte = 92
; NumSgprs: 10
; NumVgprs: 5
; NumAgprs: 0
; TotalNumVgprs: 5
; ScratchSize: 0
; MemoryBound: 0
; FloatMode: 240
; IeeeMode: 1
; LDSByteSize: 8192 bytes/workgroup (compile time only)
; SGPRBlocks: 1
; VGPRBlocks: 0
; NumSGPRsForWavesPerEU: 10
; NumVGPRsForWavesPerEU: 5
; AccumOffset: 8
; Occupancy: 8
; WaveLimiterHint : 0
; COMPUTE_PGM_RSRC2:SCRATCH_EN: 0
; COMPUTE_PGM_RSRC2:USER_SGPR: 6
; COMPUTE_PGM_RSRC2:TRAP_HANDLER: 0
; COMPUTE_PGM_RSRC2:TGID_X_EN: 1
; COMPUTE_PGM_RSRC2:TGID_Y_EN: 0
; COMPUTE_PGM_RSRC2:TGID_Z_EN: 0
; COMPUTE_PGM_RSRC2:TIDIG_COMP_CNT: 0
; COMPUTE_PGM_RSRC3_GFX90A:ACCUM_OFFSET: 1
; COMPUTE_PGM_RSRC3_GFX90A:TG_SPLIT: 0
	.section	.text._Z20warp_exchange_kernelILj1024ELj5ELj32ELN6hipcub21WarpExchangeAlgorithmE0E18BlockedToStripedOpdEvPT4_S4_,"axG",@progbits,_Z20warp_exchange_kernelILj1024ELj5ELj32ELN6hipcub21WarpExchangeAlgorithmE0E18BlockedToStripedOpdEvPT4_S4_,comdat
	.protected	_Z20warp_exchange_kernelILj1024ELj5ELj32ELN6hipcub21WarpExchangeAlgorithmE0E18BlockedToStripedOpdEvPT4_S4_ ; -- Begin function _Z20warp_exchange_kernelILj1024ELj5ELj32ELN6hipcub21WarpExchangeAlgorithmE0E18BlockedToStripedOpdEvPT4_S4_
	.globl	_Z20warp_exchange_kernelILj1024ELj5ELj32ELN6hipcub21WarpExchangeAlgorithmE0E18BlockedToStripedOpdEvPT4_S4_
	.p2align	8
	.type	_Z20warp_exchange_kernelILj1024ELj5ELj32ELN6hipcub21WarpExchangeAlgorithmE0E18BlockedToStripedOpdEvPT4_S4_,@function
_Z20warp_exchange_kernelILj1024ELj5ELj32ELN6hipcub21WarpExchangeAlgorithmE0E18BlockedToStripedOpdEvPT4_S4_: ; @_Z20warp_exchange_kernelILj1024ELj5ELj32ELN6hipcub21WarpExchangeAlgorithmE0E18BlockedToStripedOpdEvPT4_S4_
; %bb.0:
	s_load_dwordx4 s[0:3], s[4:5], 0x0
	v_mul_u32_u24_e32 v1, 5, v0
	v_lshlrev_b32_e32 v12, 3, v1
	v_mbcnt_lo_u32_b32 v1, -1, 0
	v_mbcnt_hi_u32_b32 v1, -1, v1
	s_waitcnt lgkmcnt(0)
	global_load_dwordx4 v[2:5], v12, s[0:1]
	global_load_dwordx4 v[6:9], v12, s[0:1] offset:16
	global_load_dwordx2 v[10:11], v12, s[0:1] offset:32
	v_and_b32_e32 v1, 31, v1
	s_movk_i32 s0, 0x500
	v_lshrrev_b32_e32 v0, 5, v0
	v_mul_u32_u24_e32 v13, 40, v1
	v_lshlrev_b32_e32 v1, 5, v1
	v_mad_u32_u24 v0, v0, s0, v13
	v_sub_u32_e32 v13, v0, v1
	s_waitcnt vmcnt(2)
	ds_write2_b64 v0, v[2:3], v[4:5] offset1:1
	s_waitcnt vmcnt(1)
	ds_write2_b64 v0, v[6:7], v[8:9] offset0:2 offset1:3
	s_waitcnt vmcnt(0)
	ds_write_b64 v0, v[10:11] offset:32
	; wave barrier
	ds_read2_b64 v[0:3], v13 offset1:32
	ds_read2_b64 v[4:7], v13 offset0:64 offset1:96
	ds_read_b64 v[8:9], v13 offset:1024
	s_waitcnt lgkmcnt(2)
	global_store_dwordx4 v12, v[0:3], s[2:3]
	s_waitcnt lgkmcnt(1)
	global_store_dwordx4 v12, v[4:7], s[2:3] offset:16
	s_waitcnt lgkmcnt(0)
	global_store_dwordx2 v12, v[8:9], s[2:3] offset:32
	s_endpgm
	.section	.rodata,"a",@progbits
	.p2align	6, 0x0
	.amdhsa_kernel _Z20warp_exchange_kernelILj1024ELj5ELj32ELN6hipcub21WarpExchangeAlgorithmE0E18BlockedToStripedOpdEvPT4_S4_
		.amdhsa_group_segment_fixed_size 40960
		.amdhsa_private_segment_fixed_size 0
		.amdhsa_kernarg_size 16
		.amdhsa_user_sgpr_count 6
		.amdhsa_user_sgpr_private_segment_buffer 1
		.amdhsa_user_sgpr_dispatch_ptr 0
		.amdhsa_user_sgpr_queue_ptr 0
		.amdhsa_user_sgpr_kernarg_segment_ptr 1
		.amdhsa_user_sgpr_dispatch_id 0
		.amdhsa_user_sgpr_flat_scratch_init 0
		.amdhsa_user_sgpr_kernarg_preload_length 0
		.amdhsa_user_sgpr_kernarg_preload_offset 0
		.amdhsa_user_sgpr_private_segment_size 0
		.amdhsa_uses_dynamic_stack 0
		.amdhsa_system_sgpr_private_segment_wavefront_offset 0
		.amdhsa_system_sgpr_workgroup_id_x 1
		.amdhsa_system_sgpr_workgroup_id_y 0
		.amdhsa_system_sgpr_workgroup_id_z 0
		.amdhsa_system_sgpr_workgroup_info 0
		.amdhsa_system_vgpr_workitem_id 0
		.amdhsa_next_free_vgpr 14
		.amdhsa_next_free_sgpr 6
		.amdhsa_accum_offset 16
		.amdhsa_reserve_vcc 0
		.amdhsa_reserve_flat_scratch 0
		.amdhsa_float_round_mode_32 0
		.amdhsa_float_round_mode_16_64 0
		.amdhsa_float_denorm_mode_32 3
		.amdhsa_float_denorm_mode_16_64 3
		.amdhsa_dx10_clamp 1
		.amdhsa_ieee_mode 1
		.amdhsa_fp16_overflow 0
		.amdhsa_tg_split 0
		.amdhsa_exception_fp_ieee_invalid_op 0
		.amdhsa_exception_fp_denorm_src 0
		.amdhsa_exception_fp_ieee_div_zero 0
		.amdhsa_exception_fp_ieee_overflow 0
		.amdhsa_exception_fp_ieee_underflow 0
		.amdhsa_exception_fp_ieee_inexact 0
		.amdhsa_exception_int_div_zero 0
	.end_amdhsa_kernel
	.section	.text._Z20warp_exchange_kernelILj1024ELj5ELj32ELN6hipcub21WarpExchangeAlgorithmE0E18BlockedToStripedOpdEvPT4_S4_,"axG",@progbits,_Z20warp_exchange_kernelILj1024ELj5ELj32ELN6hipcub21WarpExchangeAlgorithmE0E18BlockedToStripedOpdEvPT4_S4_,comdat
.Lfunc_end95:
	.size	_Z20warp_exchange_kernelILj1024ELj5ELj32ELN6hipcub21WarpExchangeAlgorithmE0E18BlockedToStripedOpdEvPT4_S4_, .Lfunc_end95-_Z20warp_exchange_kernelILj1024ELj5ELj32ELN6hipcub21WarpExchangeAlgorithmE0E18BlockedToStripedOpdEvPT4_S4_
                                        ; -- End function
	.section	.AMDGPU.csdata,"",@progbits
; Kernel info:
; codeLenInByte = 192
; NumSgprs: 10
; NumVgprs: 14
; NumAgprs: 0
; TotalNumVgprs: 14
; ScratchSize: 0
; MemoryBound: 1
; FloatMode: 240
; IeeeMode: 1
; LDSByteSize: 40960 bytes/workgroup (compile time only)
; SGPRBlocks: 1
; VGPRBlocks: 1
; NumSGPRsForWavesPerEU: 10
; NumVGPRsForWavesPerEU: 14
; AccumOffset: 16
; Occupancy: 4
; WaveLimiterHint : 1
; COMPUTE_PGM_RSRC2:SCRATCH_EN: 0
; COMPUTE_PGM_RSRC2:USER_SGPR: 6
; COMPUTE_PGM_RSRC2:TRAP_HANDLER: 0
; COMPUTE_PGM_RSRC2:TGID_X_EN: 1
; COMPUTE_PGM_RSRC2:TGID_Y_EN: 0
; COMPUTE_PGM_RSRC2:TGID_Z_EN: 0
; COMPUTE_PGM_RSRC2:TIDIG_COMP_CNT: 0
; COMPUTE_PGM_RSRC3_GFX90A:ACCUM_OFFSET: 3
; COMPUTE_PGM_RSRC3_GFX90A:TG_SPLIT: 0
	.section	.text._Z20warp_exchange_kernelILj1024ELj4ELj32ELN6hipcub21WarpExchangeAlgorithmE0E18BlockedToStripedOpdEvPT4_S4_,"axG",@progbits,_Z20warp_exchange_kernelILj1024ELj4ELj32ELN6hipcub21WarpExchangeAlgorithmE0E18BlockedToStripedOpdEvPT4_S4_,comdat
	.protected	_Z20warp_exchange_kernelILj1024ELj4ELj32ELN6hipcub21WarpExchangeAlgorithmE0E18BlockedToStripedOpdEvPT4_S4_ ; -- Begin function _Z20warp_exchange_kernelILj1024ELj4ELj32ELN6hipcub21WarpExchangeAlgorithmE0E18BlockedToStripedOpdEvPT4_S4_
	.globl	_Z20warp_exchange_kernelILj1024ELj4ELj32ELN6hipcub21WarpExchangeAlgorithmE0E18BlockedToStripedOpdEvPT4_S4_
	.p2align	8
	.type	_Z20warp_exchange_kernelILj1024ELj4ELj32ELN6hipcub21WarpExchangeAlgorithmE0E18BlockedToStripedOpdEvPT4_S4_,@function
_Z20warp_exchange_kernelILj1024ELj4ELj32ELN6hipcub21WarpExchangeAlgorithmE0E18BlockedToStripedOpdEvPT4_S4_: ; @_Z20warp_exchange_kernelILj1024ELj4ELj32ELN6hipcub21WarpExchangeAlgorithmE0E18BlockedToStripedOpdEvPT4_S4_
; %bb.0:
	s_load_dwordx4 s[0:3], s[4:5], 0x0
	v_lshlrev_b32_e32 v8, 5, v0
	v_mbcnt_lo_u32_b32 v9, -1, 0
	v_mbcnt_hi_u32_b32 v9, -1, v9
	v_and_b32_e32 v9, 31, v9
	s_waitcnt lgkmcnt(0)
	global_load_dwordx4 v[0:3], v8, s[0:1]
	global_load_dwordx4 v[4:7], v8, s[0:1] offset:16
	s_movk_i32 s0, 0x7c00
	v_lshlrev_b32_e32 v10, 5, v9
	s_movk_i32 s1, 0xffe8
	v_and_or_b32 v10, v8, s0, v10
	v_mad_i32_i24 v9, v9, s1, v10
	s_waitcnt vmcnt(1)
	ds_write_b128 v10, v[0:3]
	s_waitcnt vmcnt(0)
	ds_write_b128 v10, v[4:7] offset:16
	; wave barrier
	ds_read2_b64 v[0:3], v9 offset1:32
	ds_read2_b64 v[4:7], v9 offset0:64 offset1:96
	s_waitcnt lgkmcnt(1)
	global_store_dwordx4 v8, v[0:3], s[2:3]
	s_waitcnt lgkmcnt(0)
	global_store_dwordx4 v8, v[4:7], s[2:3] offset:16
	s_endpgm
	.section	.rodata,"a",@progbits
	.p2align	6, 0x0
	.amdhsa_kernel _Z20warp_exchange_kernelILj1024ELj4ELj32ELN6hipcub21WarpExchangeAlgorithmE0E18BlockedToStripedOpdEvPT4_S4_
		.amdhsa_group_segment_fixed_size 32768
		.amdhsa_private_segment_fixed_size 0
		.amdhsa_kernarg_size 16
		.amdhsa_user_sgpr_count 6
		.amdhsa_user_sgpr_private_segment_buffer 1
		.amdhsa_user_sgpr_dispatch_ptr 0
		.amdhsa_user_sgpr_queue_ptr 0
		.amdhsa_user_sgpr_kernarg_segment_ptr 1
		.amdhsa_user_sgpr_dispatch_id 0
		.amdhsa_user_sgpr_flat_scratch_init 0
		.amdhsa_user_sgpr_kernarg_preload_length 0
		.amdhsa_user_sgpr_kernarg_preload_offset 0
		.amdhsa_user_sgpr_private_segment_size 0
		.amdhsa_uses_dynamic_stack 0
		.amdhsa_system_sgpr_private_segment_wavefront_offset 0
		.amdhsa_system_sgpr_workgroup_id_x 1
		.amdhsa_system_sgpr_workgroup_id_y 0
		.amdhsa_system_sgpr_workgroup_id_z 0
		.amdhsa_system_sgpr_workgroup_info 0
		.amdhsa_system_vgpr_workitem_id 0
		.amdhsa_next_free_vgpr 11
		.amdhsa_next_free_sgpr 6
		.amdhsa_accum_offset 12
		.amdhsa_reserve_vcc 0
		.amdhsa_reserve_flat_scratch 0
		.amdhsa_float_round_mode_32 0
		.amdhsa_float_round_mode_16_64 0
		.amdhsa_float_denorm_mode_32 3
		.amdhsa_float_denorm_mode_16_64 3
		.amdhsa_dx10_clamp 1
		.amdhsa_ieee_mode 1
		.amdhsa_fp16_overflow 0
		.amdhsa_tg_split 0
		.amdhsa_exception_fp_ieee_invalid_op 0
		.amdhsa_exception_fp_denorm_src 0
		.amdhsa_exception_fp_ieee_div_zero 0
		.amdhsa_exception_fp_ieee_overflow 0
		.amdhsa_exception_fp_ieee_underflow 0
		.amdhsa_exception_fp_ieee_inexact 0
		.amdhsa_exception_int_div_zero 0
	.end_amdhsa_kernel
	.section	.text._Z20warp_exchange_kernelILj1024ELj4ELj32ELN6hipcub21WarpExchangeAlgorithmE0E18BlockedToStripedOpdEvPT4_S4_,"axG",@progbits,_Z20warp_exchange_kernelILj1024ELj4ELj32ELN6hipcub21WarpExchangeAlgorithmE0E18BlockedToStripedOpdEvPT4_S4_,comdat
.Lfunc_end96:
	.size	_Z20warp_exchange_kernelILj1024ELj4ELj32ELN6hipcub21WarpExchangeAlgorithmE0E18BlockedToStripedOpdEvPT4_S4_, .Lfunc_end96-_Z20warp_exchange_kernelILj1024ELj4ELj32ELN6hipcub21WarpExchangeAlgorithmE0E18BlockedToStripedOpdEvPT4_S4_
                                        ; -- End function
	.section	.AMDGPU.csdata,"",@progbits
; Kernel info:
; codeLenInByte = 148
; NumSgprs: 10
; NumVgprs: 11
; NumAgprs: 0
; TotalNumVgprs: 11
; ScratchSize: 0
; MemoryBound: 1
; FloatMode: 240
; IeeeMode: 1
; LDSByteSize: 32768 bytes/workgroup (compile time only)
; SGPRBlocks: 1
; VGPRBlocks: 1
; NumSGPRsForWavesPerEU: 10
; NumVGPRsForWavesPerEU: 11
; AccumOffset: 12
; Occupancy: 8
; WaveLimiterHint : 1
; COMPUTE_PGM_RSRC2:SCRATCH_EN: 0
; COMPUTE_PGM_RSRC2:USER_SGPR: 6
; COMPUTE_PGM_RSRC2:TRAP_HANDLER: 0
; COMPUTE_PGM_RSRC2:TGID_X_EN: 1
; COMPUTE_PGM_RSRC2:TGID_Y_EN: 0
; COMPUTE_PGM_RSRC2:TGID_Z_EN: 0
; COMPUTE_PGM_RSRC2:TIDIG_COMP_CNT: 0
; COMPUTE_PGM_RSRC3_GFX90A:ACCUM_OFFSET: 2
; COMPUTE_PGM_RSRC3_GFX90A:TG_SPLIT: 0
	.section	.text._Z20warp_exchange_kernelILj1024ELj1ELj32ELN6hipcub21WarpExchangeAlgorithmE0E18BlockedToStripedOpdEvPT4_S4_,"axG",@progbits,_Z20warp_exchange_kernelILj1024ELj1ELj32ELN6hipcub21WarpExchangeAlgorithmE0E18BlockedToStripedOpdEvPT4_S4_,comdat
	.protected	_Z20warp_exchange_kernelILj1024ELj1ELj32ELN6hipcub21WarpExchangeAlgorithmE0E18BlockedToStripedOpdEvPT4_S4_ ; -- Begin function _Z20warp_exchange_kernelILj1024ELj1ELj32ELN6hipcub21WarpExchangeAlgorithmE0E18BlockedToStripedOpdEvPT4_S4_
	.globl	_Z20warp_exchange_kernelILj1024ELj1ELj32ELN6hipcub21WarpExchangeAlgorithmE0E18BlockedToStripedOpdEvPT4_S4_
	.p2align	8
	.type	_Z20warp_exchange_kernelILj1024ELj1ELj32ELN6hipcub21WarpExchangeAlgorithmE0E18BlockedToStripedOpdEvPT4_S4_,@function
_Z20warp_exchange_kernelILj1024ELj1ELj32ELN6hipcub21WarpExchangeAlgorithmE0E18BlockedToStripedOpdEvPT4_S4_: ; @_Z20warp_exchange_kernelILj1024ELj1ELj32ELN6hipcub21WarpExchangeAlgorithmE0E18BlockedToStripedOpdEvPT4_S4_
; %bb.0:
	s_load_dwordx4 s[0:3], s[4:5], 0x0
	v_lshlrev_b32_e32 v2, 3, v0
	v_mbcnt_lo_u32_b32 v3, -1, 0
	v_mbcnt_hi_u32_b32 v3, -1, v3
	v_and_b32_e32 v3, 31, v3
	s_waitcnt lgkmcnt(0)
	global_load_dwordx2 v[0:1], v2, s[0:1]
	s_movk_i32 s0, 0x1f00
	v_lshlrev_b32_e32 v3, 3, v3
	v_and_or_b32 v3, v2, s0, v3
	s_waitcnt vmcnt(0)
	ds_write_b64 v3, v[0:1]
	; wave barrier
	ds_read_b64 v[0:1], v3
	s_waitcnt lgkmcnt(0)
	global_store_dwordx2 v2, v[0:1], s[2:3]
	s_endpgm
	.section	.rodata,"a",@progbits
	.p2align	6, 0x0
	.amdhsa_kernel _Z20warp_exchange_kernelILj1024ELj1ELj32ELN6hipcub21WarpExchangeAlgorithmE0E18BlockedToStripedOpdEvPT4_S4_
		.amdhsa_group_segment_fixed_size 8192
		.amdhsa_private_segment_fixed_size 0
		.amdhsa_kernarg_size 16
		.amdhsa_user_sgpr_count 6
		.amdhsa_user_sgpr_private_segment_buffer 1
		.amdhsa_user_sgpr_dispatch_ptr 0
		.amdhsa_user_sgpr_queue_ptr 0
		.amdhsa_user_sgpr_kernarg_segment_ptr 1
		.amdhsa_user_sgpr_dispatch_id 0
		.amdhsa_user_sgpr_flat_scratch_init 0
		.amdhsa_user_sgpr_kernarg_preload_length 0
		.amdhsa_user_sgpr_kernarg_preload_offset 0
		.amdhsa_user_sgpr_private_segment_size 0
		.amdhsa_uses_dynamic_stack 0
		.amdhsa_system_sgpr_private_segment_wavefront_offset 0
		.amdhsa_system_sgpr_workgroup_id_x 1
		.amdhsa_system_sgpr_workgroup_id_y 0
		.amdhsa_system_sgpr_workgroup_id_z 0
		.amdhsa_system_sgpr_workgroup_info 0
		.amdhsa_system_vgpr_workitem_id 0
		.amdhsa_next_free_vgpr 4
		.amdhsa_next_free_sgpr 6
		.amdhsa_accum_offset 4
		.amdhsa_reserve_vcc 0
		.amdhsa_reserve_flat_scratch 0
		.amdhsa_float_round_mode_32 0
		.amdhsa_float_round_mode_16_64 0
		.amdhsa_float_denorm_mode_32 3
		.amdhsa_float_denorm_mode_16_64 3
		.amdhsa_dx10_clamp 1
		.amdhsa_ieee_mode 1
		.amdhsa_fp16_overflow 0
		.amdhsa_tg_split 0
		.amdhsa_exception_fp_ieee_invalid_op 0
		.amdhsa_exception_fp_denorm_src 0
		.amdhsa_exception_fp_ieee_div_zero 0
		.amdhsa_exception_fp_ieee_overflow 0
		.amdhsa_exception_fp_ieee_underflow 0
		.amdhsa_exception_fp_ieee_inexact 0
		.amdhsa_exception_int_div_zero 0
	.end_amdhsa_kernel
	.section	.text._Z20warp_exchange_kernelILj1024ELj1ELj32ELN6hipcub21WarpExchangeAlgorithmE0E18BlockedToStripedOpdEvPT4_S4_,"axG",@progbits,_Z20warp_exchange_kernelILj1024ELj1ELj32ELN6hipcub21WarpExchangeAlgorithmE0E18BlockedToStripedOpdEvPT4_S4_,comdat
.Lfunc_end97:
	.size	_Z20warp_exchange_kernelILj1024ELj1ELj32ELN6hipcub21WarpExchangeAlgorithmE0E18BlockedToStripedOpdEvPT4_S4_, .Lfunc_end97-_Z20warp_exchange_kernelILj1024ELj1ELj32ELN6hipcub21WarpExchangeAlgorithmE0E18BlockedToStripedOpdEvPT4_S4_
                                        ; -- End function
	.section	.AMDGPU.csdata,"",@progbits
; Kernel info:
; codeLenInByte = 96
; NumSgprs: 10
; NumVgprs: 4
; NumAgprs: 0
; TotalNumVgprs: 4
; ScratchSize: 0
; MemoryBound: 0
; FloatMode: 240
; IeeeMode: 1
; LDSByteSize: 8192 bytes/workgroup (compile time only)
; SGPRBlocks: 1
; VGPRBlocks: 0
; NumSGPRsForWavesPerEU: 10
; NumVGPRsForWavesPerEU: 4
; AccumOffset: 4
; Occupancy: 8
; WaveLimiterHint : 0
; COMPUTE_PGM_RSRC2:SCRATCH_EN: 0
; COMPUTE_PGM_RSRC2:USER_SGPR: 6
; COMPUTE_PGM_RSRC2:TRAP_HANDLER: 0
; COMPUTE_PGM_RSRC2:TGID_X_EN: 1
; COMPUTE_PGM_RSRC2:TGID_Y_EN: 0
; COMPUTE_PGM_RSRC2:TGID_Z_EN: 0
; COMPUTE_PGM_RSRC2:TIDIG_COMP_CNT: 0
; COMPUTE_PGM_RSRC3_GFX90A:ACCUM_OFFSET: 0
; COMPUTE_PGM_RSRC3_GFX90A:TG_SPLIT: 0
	.section	.text._Z20warp_exchange_kernelILj1024ELj5ELj16ELN6hipcub21WarpExchangeAlgorithmE0E18BlockedToStripedOpdEvPT4_S4_,"axG",@progbits,_Z20warp_exchange_kernelILj1024ELj5ELj16ELN6hipcub21WarpExchangeAlgorithmE0E18BlockedToStripedOpdEvPT4_S4_,comdat
	.protected	_Z20warp_exchange_kernelILj1024ELj5ELj16ELN6hipcub21WarpExchangeAlgorithmE0E18BlockedToStripedOpdEvPT4_S4_ ; -- Begin function _Z20warp_exchange_kernelILj1024ELj5ELj16ELN6hipcub21WarpExchangeAlgorithmE0E18BlockedToStripedOpdEvPT4_S4_
	.globl	_Z20warp_exchange_kernelILj1024ELj5ELj16ELN6hipcub21WarpExchangeAlgorithmE0E18BlockedToStripedOpdEvPT4_S4_
	.p2align	8
	.type	_Z20warp_exchange_kernelILj1024ELj5ELj16ELN6hipcub21WarpExchangeAlgorithmE0E18BlockedToStripedOpdEvPT4_S4_,@function
_Z20warp_exchange_kernelILj1024ELj5ELj16ELN6hipcub21WarpExchangeAlgorithmE0E18BlockedToStripedOpdEvPT4_S4_: ; @_Z20warp_exchange_kernelILj1024ELj5ELj16ELN6hipcub21WarpExchangeAlgorithmE0E18BlockedToStripedOpdEvPT4_S4_
; %bb.0:
	s_load_dwordx4 s[0:3], s[4:5], 0x0
	v_mul_u32_u24_e32 v1, 5, v0
	v_lshlrev_b32_e32 v12, 3, v1
	v_mbcnt_lo_u32_b32 v1, -1, 0
	v_mbcnt_hi_u32_b32 v1, -1, v1
	s_waitcnt lgkmcnt(0)
	global_load_dwordx4 v[2:5], v12, s[0:1]
	global_load_dwordx4 v[6:9], v12, s[0:1] offset:16
	global_load_dwordx2 v[10:11], v12, s[0:1] offset:32
	v_and_b32_e32 v1, 15, v1
	s_movk_i32 s0, 0x280
	v_lshrrev_b32_e32 v0, 4, v0
	v_mul_u32_u24_e32 v13, 40, v1
	v_lshlrev_b32_e32 v1, 5, v1
	v_mad_u32_u24 v0, v0, s0, v13
	v_sub_u32_e32 v13, v0, v1
	s_waitcnt vmcnt(2)
	ds_write2_b64 v0, v[2:3], v[4:5] offset1:1
	s_waitcnt vmcnt(1)
	ds_write2_b64 v0, v[6:7], v[8:9] offset0:2 offset1:3
	s_waitcnt vmcnt(0)
	ds_write_b64 v0, v[10:11] offset:32
	; wave barrier
	ds_read2_b64 v[0:3], v13 offset1:16
	ds_read2_b64 v[4:7], v13 offset0:32 offset1:48
	ds_read_b64 v[8:9], v13 offset:512
	s_waitcnt lgkmcnt(2)
	global_store_dwordx4 v12, v[0:3], s[2:3]
	s_waitcnt lgkmcnt(1)
	global_store_dwordx4 v12, v[4:7], s[2:3] offset:16
	s_waitcnt lgkmcnt(0)
	global_store_dwordx2 v12, v[8:9], s[2:3] offset:32
	s_endpgm
	.section	.rodata,"a",@progbits
	.p2align	6, 0x0
	.amdhsa_kernel _Z20warp_exchange_kernelILj1024ELj5ELj16ELN6hipcub21WarpExchangeAlgorithmE0E18BlockedToStripedOpdEvPT4_S4_
		.amdhsa_group_segment_fixed_size 40960
		.amdhsa_private_segment_fixed_size 0
		.amdhsa_kernarg_size 16
		.amdhsa_user_sgpr_count 6
		.amdhsa_user_sgpr_private_segment_buffer 1
		.amdhsa_user_sgpr_dispatch_ptr 0
		.amdhsa_user_sgpr_queue_ptr 0
		.amdhsa_user_sgpr_kernarg_segment_ptr 1
		.amdhsa_user_sgpr_dispatch_id 0
		.amdhsa_user_sgpr_flat_scratch_init 0
		.amdhsa_user_sgpr_kernarg_preload_length 0
		.amdhsa_user_sgpr_kernarg_preload_offset 0
		.amdhsa_user_sgpr_private_segment_size 0
		.amdhsa_uses_dynamic_stack 0
		.amdhsa_system_sgpr_private_segment_wavefront_offset 0
		.amdhsa_system_sgpr_workgroup_id_x 1
		.amdhsa_system_sgpr_workgroup_id_y 0
		.amdhsa_system_sgpr_workgroup_id_z 0
		.amdhsa_system_sgpr_workgroup_info 0
		.amdhsa_system_vgpr_workitem_id 0
		.amdhsa_next_free_vgpr 14
		.amdhsa_next_free_sgpr 6
		.amdhsa_accum_offset 16
		.amdhsa_reserve_vcc 0
		.amdhsa_reserve_flat_scratch 0
		.amdhsa_float_round_mode_32 0
		.amdhsa_float_round_mode_16_64 0
		.amdhsa_float_denorm_mode_32 3
		.amdhsa_float_denorm_mode_16_64 3
		.amdhsa_dx10_clamp 1
		.amdhsa_ieee_mode 1
		.amdhsa_fp16_overflow 0
		.amdhsa_tg_split 0
		.amdhsa_exception_fp_ieee_invalid_op 0
		.amdhsa_exception_fp_denorm_src 0
		.amdhsa_exception_fp_ieee_div_zero 0
		.amdhsa_exception_fp_ieee_overflow 0
		.amdhsa_exception_fp_ieee_underflow 0
		.amdhsa_exception_fp_ieee_inexact 0
		.amdhsa_exception_int_div_zero 0
	.end_amdhsa_kernel
	.section	.text._Z20warp_exchange_kernelILj1024ELj5ELj16ELN6hipcub21WarpExchangeAlgorithmE0E18BlockedToStripedOpdEvPT4_S4_,"axG",@progbits,_Z20warp_exchange_kernelILj1024ELj5ELj16ELN6hipcub21WarpExchangeAlgorithmE0E18BlockedToStripedOpdEvPT4_S4_,comdat
.Lfunc_end98:
	.size	_Z20warp_exchange_kernelILj1024ELj5ELj16ELN6hipcub21WarpExchangeAlgorithmE0E18BlockedToStripedOpdEvPT4_S4_, .Lfunc_end98-_Z20warp_exchange_kernelILj1024ELj5ELj16ELN6hipcub21WarpExchangeAlgorithmE0E18BlockedToStripedOpdEvPT4_S4_
                                        ; -- End function
	.section	.AMDGPU.csdata,"",@progbits
; Kernel info:
; codeLenInByte = 192
; NumSgprs: 10
; NumVgprs: 14
; NumAgprs: 0
; TotalNumVgprs: 14
; ScratchSize: 0
; MemoryBound: 1
; FloatMode: 240
; IeeeMode: 1
; LDSByteSize: 40960 bytes/workgroup (compile time only)
; SGPRBlocks: 1
; VGPRBlocks: 1
; NumSGPRsForWavesPerEU: 10
; NumVGPRsForWavesPerEU: 14
; AccumOffset: 16
; Occupancy: 4
; WaveLimiterHint : 1
; COMPUTE_PGM_RSRC2:SCRATCH_EN: 0
; COMPUTE_PGM_RSRC2:USER_SGPR: 6
; COMPUTE_PGM_RSRC2:TRAP_HANDLER: 0
; COMPUTE_PGM_RSRC2:TGID_X_EN: 1
; COMPUTE_PGM_RSRC2:TGID_Y_EN: 0
; COMPUTE_PGM_RSRC2:TGID_Z_EN: 0
; COMPUTE_PGM_RSRC2:TIDIG_COMP_CNT: 0
; COMPUTE_PGM_RSRC3_GFX90A:ACCUM_OFFSET: 3
; COMPUTE_PGM_RSRC3_GFX90A:TG_SPLIT: 0
	.section	.text._Z20warp_exchange_kernelILj1024ELj4ELj16ELN6hipcub21WarpExchangeAlgorithmE0E18BlockedToStripedOpdEvPT4_S4_,"axG",@progbits,_Z20warp_exchange_kernelILj1024ELj4ELj16ELN6hipcub21WarpExchangeAlgorithmE0E18BlockedToStripedOpdEvPT4_S4_,comdat
	.protected	_Z20warp_exchange_kernelILj1024ELj4ELj16ELN6hipcub21WarpExchangeAlgorithmE0E18BlockedToStripedOpdEvPT4_S4_ ; -- Begin function _Z20warp_exchange_kernelILj1024ELj4ELj16ELN6hipcub21WarpExchangeAlgorithmE0E18BlockedToStripedOpdEvPT4_S4_
	.globl	_Z20warp_exchange_kernelILj1024ELj4ELj16ELN6hipcub21WarpExchangeAlgorithmE0E18BlockedToStripedOpdEvPT4_S4_
	.p2align	8
	.type	_Z20warp_exchange_kernelILj1024ELj4ELj16ELN6hipcub21WarpExchangeAlgorithmE0E18BlockedToStripedOpdEvPT4_S4_,@function
_Z20warp_exchange_kernelILj1024ELj4ELj16ELN6hipcub21WarpExchangeAlgorithmE0E18BlockedToStripedOpdEvPT4_S4_: ; @_Z20warp_exchange_kernelILj1024ELj4ELj16ELN6hipcub21WarpExchangeAlgorithmE0E18BlockedToStripedOpdEvPT4_S4_
; %bb.0:
	s_load_dwordx4 s[0:3], s[4:5], 0x0
	v_lshlrev_b32_e32 v8, 5, v0
	v_mbcnt_lo_u32_b32 v9, -1, 0
	v_mbcnt_hi_u32_b32 v9, -1, v9
	v_and_b32_e32 v9, 15, v9
	s_waitcnt lgkmcnt(0)
	global_load_dwordx4 v[0:3], v8, s[0:1]
	global_load_dwordx4 v[4:7], v8, s[0:1] offset:16
	s_movk_i32 s0, 0x7e00
	v_lshlrev_b32_e32 v10, 5, v9
	s_movk_i32 s1, 0xffe8
	v_and_or_b32 v10, v8, s0, v10
	v_mad_i32_i24 v9, v9, s1, v10
	s_waitcnt vmcnt(1)
	ds_write_b128 v10, v[0:3]
	s_waitcnt vmcnt(0)
	ds_write_b128 v10, v[4:7] offset:16
	; wave barrier
	ds_read2_b64 v[0:3], v9 offset1:16
	ds_read2_b64 v[4:7], v9 offset0:32 offset1:48
	s_waitcnt lgkmcnt(1)
	global_store_dwordx4 v8, v[0:3], s[2:3]
	s_waitcnt lgkmcnt(0)
	global_store_dwordx4 v8, v[4:7], s[2:3] offset:16
	s_endpgm
	.section	.rodata,"a",@progbits
	.p2align	6, 0x0
	.amdhsa_kernel _Z20warp_exchange_kernelILj1024ELj4ELj16ELN6hipcub21WarpExchangeAlgorithmE0E18BlockedToStripedOpdEvPT4_S4_
		.amdhsa_group_segment_fixed_size 32768
		.amdhsa_private_segment_fixed_size 0
		.amdhsa_kernarg_size 16
		.amdhsa_user_sgpr_count 6
		.amdhsa_user_sgpr_private_segment_buffer 1
		.amdhsa_user_sgpr_dispatch_ptr 0
		.amdhsa_user_sgpr_queue_ptr 0
		.amdhsa_user_sgpr_kernarg_segment_ptr 1
		.amdhsa_user_sgpr_dispatch_id 0
		.amdhsa_user_sgpr_flat_scratch_init 0
		.amdhsa_user_sgpr_kernarg_preload_length 0
		.amdhsa_user_sgpr_kernarg_preload_offset 0
		.amdhsa_user_sgpr_private_segment_size 0
		.amdhsa_uses_dynamic_stack 0
		.amdhsa_system_sgpr_private_segment_wavefront_offset 0
		.amdhsa_system_sgpr_workgroup_id_x 1
		.amdhsa_system_sgpr_workgroup_id_y 0
		.amdhsa_system_sgpr_workgroup_id_z 0
		.amdhsa_system_sgpr_workgroup_info 0
		.amdhsa_system_vgpr_workitem_id 0
		.amdhsa_next_free_vgpr 11
		.amdhsa_next_free_sgpr 6
		.amdhsa_accum_offset 12
		.amdhsa_reserve_vcc 0
		.amdhsa_reserve_flat_scratch 0
		.amdhsa_float_round_mode_32 0
		.amdhsa_float_round_mode_16_64 0
		.amdhsa_float_denorm_mode_32 3
		.amdhsa_float_denorm_mode_16_64 3
		.amdhsa_dx10_clamp 1
		.amdhsa_ieee_mode 1
		.amdhsa_fp16_overflow 0
		.amdhsa_tg_split 0
		.amdhsa_exception_fp_ieee_invalid_op 0
		.amdhsa_exception_fp_denorm_src 0
		.amdhsa_exception_fp_ieee_div_zero 0
		.amdhsa_exception_fp_ieee_overflow 0
		.amdhsa_exception_fp_ieee_underflow 0
		.amdhsa_exception_fp_ieee_inexact 0
		.amdhsa_exception_int_div_zero 0
	.end_amdhsa_kernel
	.section	.text._Z20warp_exchange_kernelILj1024ELj4ELj16ELN6hipcub21WarpExchangeAlgorithmE0E18BlockedToStripedOpdEvPT4_S4_,"axG",@progbits,_Z20warp_exchange_kernelILj1024ELj4ELj16ELN6hipcub21WarpExchangeAlgorithmE0E18BlockedToStripedOpdEvPT4_S4_,comdat
.Lfunc_end99:
	.size	_Z20warp_exchange_kernelILj1024ELj4ELj16ELN6hipcub21WarpExchangeAlgorithmE0E18BlockedToStripedOpdEvPT4_S4_, .Lfunc_end99-_Z20warp_exchange_kernelILj1024ELj4ELj16ELN6hipcub21WarpExchangeAlgorithmE0E18BlockedToStripedOpdEvPT4_S4_
                                        ; -- End function
	.section	.AMDGPU.csdata,"",@progbits
; Kernel info:
; codeLenInByte = 148
; NumSgprs: 10
; NumVgprs: 11
; NumAgprs: 0
; TotalNumVgprs: 11
; ScratchSize: 0
; MemoryBound: 1
; FloatMode: 240
; IeeeMode: 1
; LDSByteSize: 32768 bytes/workgroup (compile time only)
; SGPRBlocks: 1
; VGPRBlocks: 1
; NumSGPRsForWavesPerEU: 10
; NumVGPRsForWavesPerEU: 11
; AccumOffset: 12
; Occupancy: 8
; WaveLimiterHint : 1
; COMPUTE_PGM_RSRC2:SCRATCH_EN: 0
; COMPUTE_PGM_RSRC2:USER_SGPR: 6
; COMPUTE_PGM_RSRC2:TRAP_HANDLER: 0
; COMPUTE_PGM_RSRC2:TGID_X_EN: 1
; COMPUTE_PGM_RSRC2:TGID_Y_EN: 0
; COMPUTE_PGM_RSRC2:TGID_Z_EN: 0
; COMPUTE_PGM_RSRC2:TIDIG_COMP_CNT: 0
; COMPUTE_PGM_RSRC3_GFX90A:ACCUM_OFFSET: 2
; COMPUTE_PGM_RSRC3_GFX90A:TG_SPLIT: 0
	.section	.text._Z20warp_exchange_kernelILj1024ELj1ELj16ELN6hipcub21WarpExchangeAlgorithmE0E18BlockedToStripedOpdEvPT4_S4_,"axG",@progbits,_Z20warp_exchange_kernelILj1024ELj1ELj16ELN6hipcub21WarpExchangeAlgorithmE0E18BlockedToStripedOpdEvPT4_S4_,comdat
	.protected	_Z20warp_exchange_kernelILj1024ELj1ELj16ELN6hipcub21WarpExchangeAlgorithmE0E18BlockedToStripedOpdEvPT4_S4_ ; -- Begin function _Z20warp_exchange_kernelILj1024ELj1ELj16ELN6hipcub21WarpExchangeAlgorithmE0E18BlockedToStripedOpdEvPT4_S4_
	.globl	_Z20warp_exchange_kernelILj1024ELj1ELj16ELN6hipcub21WarpExchangeAlgorithmE0E18BlockedToStripedOpdEvPT4_S4_
	.p2align	8
	.type	_Z20warp_exchange_kernelILj1024ELj1ELj16ELN6hipcub21WarpExchangeAlgorithmE0E18BlockedToStripedOpdEvPT4_S4_,@function
_Z20warp_exchange_kernelILj1024ELj1ELj16ELN6hipcub21WarpExchangeAlgorithmE0E18BlockedToStripedOpdEvPT4_S4_: ; @_Z20warp_exchange_kernelILj1024ELj1ELj16ELN6hipcub21WarpExchangeAlgorithmE0E18BlockedToStripedOpdEvPT4_S4_
; %bb.0:
	s_load_dwordx4 s[0:3], s[4:5], 0x0
	v_lshlrev_b32_e32 v2, 3, v0
	v_mbcnt_lo_u32_b32 v3, -1, 0
	v_mbcnt_hi_u32_b32 v3, -1, v3
	v_and_b32_e32 v3, 15, v3
	s_waitcnt lgkmcnt(0)
	global_load_dwordx2 v[0:1], v2, s[0:1]
	s_movk_i32 s0, 0x1f80
	v_lshlrev_b32_e32 v3, 3, v3
	v_and_or_b32 v3, v2, s0, v3
	s_waitcnt vmcnt(0)
	ds_write_b64 v3, v[0:1]
	; wave barrier
	ds_read_b64 v[0:1], v3
	s_waitcnt lgkmcnt(0)
	global_store_dwordx2 v2, v[0:1], s[2:3]
	s_endpgm
	.section	.rodata,"a",@progbits
	.p2align	6, 0x0
	.amdhsa_kernel _Z20warp_exchange_kernelILj1024ELj1ELj16ELN6hipcub21WarpExchangeAlgorithmE0E18BlockedToStripedOpdEvPT4_S4_
		.amdhsa_group_segment_fixed_size 8192
		.amdhsa_private_segment_fixed_size 0
		.amdhsa_kernarg_size 16
		.amdhsa_user_sgpr_count 6
		.amdhsa_user_sgpr_private_segment_buffer 1
		.amdhsa_user_sgpr_dispatch_ptr 0
		.amdhsa_user_sgpr_queue_ptr 0
		.amdhsa_user_sgpr_kernarg_segment_ptr 1
		.amdhsa_user_sgpr_dispatch_id 0
		.amdhsa_user_sgpr_flat_scratch_init 0
		.amdhsa_user_sgpr_kernarg_preload_length 0
		.amdhsa_user_sgpr_kernarg_preload_offset 0
		.amdhsa_user_sgpr_private_segment_size 0
		.amdhsa_uses_dynamic_stack 0
		.amdhsa_system_sgpr_private_segment_wavefront_offset 0
		.amdhsa_system_sgpr_workgroup_id_x 1
		.amdhsa_system_sgpr_workgroup_id_y 0
		.amdhsa_system_sgpr_workgroup_id_z 0
		.amdhsa_system_sgpr_workgroup_info 0
		.amdhsa_system_vgpr_workitem_id 0
		.amdhsa_next_free_vgpr 4
		.amdhsa_next_free_sgpr 6
		.amdhsa_accum_offset 4
		.amdhsa_reserve_vcc 0
		.amdhsa_reserve_flat_scratch 0
		.amdhsa_float_round_mode_32 0
		.amdhsa_float_round_mode_16_64 0
		.amdhsa_float_denorm_mode_32 3
		.amdhsa_float_denorm_mode_16_64 3
		.amdhsa_dx10_clamp 1
		.amdhsa_ieee_mode 1
		.amdhsa_fp16_overflow 0
		.amdhsa_tg_split 0
		.amdhsa_exception_fp_ieee_invalid_op 0
		.amdhsa_exception_fp_denorm_src 0
		.amdhsa_exception_fp_ieee_div_zero 0
		.amdhsa_exception_fp_ieee_overflow 0
		.amdhsa_exception_fp_ieee_underflow 0
		.amdhsa_exception_fp_ieee_inexact 0
		.amdhsa_exception_int_div_zero 0
	.end_amdhsa_kernel
	.section	.text._Z20warp_exchange_kernelILj1024ELj1ELj16ELN6hipcub21WarpExchangeAlgorithmE0E18BlockedToStripedOpdEvPT4_S4_,"axG",@progbits,_Z20warp_exchange_kernelILj1024ELj1ELj16ELN6hipcub21WarpExchangeAlgorithmE0E18BlockedToStripedOpdEvPT4_S4_,comdat
.Lfunc_end100:
	.size	_Z20warp_exchange_kernelILj1024ELj1ELj16ELN6hipcub21WarpExchangeAlgorithmE0E18BlockedToStripedOpdEvPT4_S4_, .Lfunc_end100-_Z20warp_exchange_kernelILj1024ELj1ELj16ELN6hipcub21WarpExchangeAlgorithmE0E18BlockedToStripedOpdEvPT4_S4_
                                        ; -- End function
	.section	.AMDGPU.csdata,"",@progbits
; Kernel info:
; codeLenInByte = 96
; NumSgprs: 10
; NumVgprs: 4
; NumAgprs: 0
; TotalNumVgprs: 4
; ScratchSize: 0
; MemoryBound: 0
; FloatMode: 240
; IeeeMode: 1
; LDSByteSize: 8192 bytes/workgroup (compile time only)
; SGPRBlocks: 1
; VGPRBlocks: 0
; NumSGPRsForWavesPerEU: 10
; NumVGPRsForWavesPerEU: 4
; AccumOffset: 4
; Occupancy: 8
; WaveLimiterHint : 0
; COMPUTE_PGM_RSRC2:SCRATCH_EN: 0
; COMPUTE_PGM_RSRC2:USER_SGPR: 6
; COMPUTE_PGM_RSRC2:TRAP_HANDLER: 0
; COMPUTE_PGM_RSRC2:TGID_X_EN: 1
; COMPUTE_PGM_RSRC2:TGID_Y_EN: 0
; COMPUTE_PGM_RSRC2:TGID_Z_EN: 0
; COMPUTE_PGM_RSRC2:TIDIG_COMP_CNT: 0
; COMPUTE_PGM_RSRC3_GFX90A:ACCUM_OFFSET: 0
; COMPUTE_PGM_RSRC3_GFX90A:TG_SPLIT: 0
	.section	.text._Z20warp_exchange_kernelILj1024ELj5ELj8ELN6hipcub21WarpExchangeAlgorithmE0E18BlockedToStripedOpdEvPT4_S4_,"axG",@progbits,_Z20warp_exchange_kernelILj1024ELj5ELj8ELN6hipcub21WarpExchangeAlgorithmE0E18BlockedToStripedOpdEvPT4_S4_,comdat
	.protected	_Z20warp_exchange_kernelILj1024ELj5ELj8ELN6hipcub21WarpExchangeAlgorithmE0E18BlockedToStripedOpdEvPT4_S4_ ; -- Begin function _Z20warp_exchange_kernelILj1024ELj5ELj8ELN6hipcub21WarpExchangeAlgorithmE0E18BlockedToStripedOpdEvPT4_S4_
	.globl	_Z20warp_exchange_kernelILj1024ELj5ELj8ELN6hipcub21WarpExchangeAlgorithmE0E18BlockedToStripedOpdEvPT4_S4_
	.p2align	8
	.type	_Z20warp_exchange_kernelILj1024ELj5ELj8ELN6hipcub21WarpExchangeAlgorithmE0E18BlockedToStripedOpdEvPT4_S4_,@function
_Z20warp_exchange_kernelILj1024ELj5ELj8ELN6hipcub21WarpExchangeAlgorithmE0E18BlockedToStripedOpdEvPT4_S4_: ; @_Z20warp_exchange_kernelILj1024ELj5ELj8ELN6hipcub21WarpExchangeAlgorithmE0E18BlockedToStripedOpdEvPT4_S4_
; %bb.0:
	s_load_dwordx4 s[0:3], s[4:5], 0x0
	v_mul_u32_u24_e32 v1, 5, v0
	v_lshlrev_b32_e32 v12, 3, v1
	v_mbcnt_lo_u32_b32 v1, -1, 0
	v_mbcnt_hi_u32_b32 v1, -1, v1
	s_waitcnt lgkmcnt(0)
	global_load_dwordx4 v[2:5], v12, s[0:1]
	global_load_dwordx4 v[6:9], v12, s[0:1] offset:16
	global_load_dwordx2 v[10:11], v12, s[0:1] offset:32
	v_and_b32_e32 v1, 7, v1
	s_movk_i32 s0, 0x140
	v_lshrrev_b32_e32 v0, 3, v0
	v_mul_u32_u24_e32 v13, 40, v1
	v_lshlrev_b32_e32 v1, 5, v1
	v_mad_u32_u24 v0, v0, s0, v13
	v_sub_u32_e32 v13, v0, v1
	s_waitcnt vmcnt(2)
	ds_write2_b64 v0, v[2:3], v[4:5] offset1:1
	s_waitcnt vmcnt(1)
	ds_write2_b64 v0, v[6:7], v[8:9] offset0:2 offset1:3
	s_waitcnt vmcnt(0)
	ds_write_b64 v0, v[10:11] offset:32
	; wave barrier
	ds_read2_b64 v[0:3], v13 offset1:8
	ds_read2_b64 v[4:7], v13 offset0:16 offset1:24
	ds_read_b64 v[8:9], v13 offset:256
	s_waitcnt lgkmcnt(2)
	global_store_dwordx4 v12, v[0:3], s[2:3]
	s_waitcnt lgkmcnt(1)
	global_store_dwordx4 v12, v[4:7], s[2:3] offset:16
	s_waitcnt lgkmcnt(0)
	global_store_dwordx2 v12, v[8:9], s[2:3] offset:32
	s_endpgm
	.section	.rodata,"a",@progbits
	.p2align	6, 0x0
	.amdhsa_kernel _Z20warp_exchange_kernelILj1024ELj5ELj8ELN6hipcub21WarpExchangeAlgorithmE0E18BlockedToStripedOpdEvPT4_S4_
		.amdhsa_group_segment_fixed_size 40960
		.amdhsa_private_segment_fixed_size 0
		.amdhsa_kernarg_size 16
		.amdhsa_user_sgpr_count 6
		.amdhsa_user_sgpr_private_segment_buffer 1
		.amdhsa_user_sgpr_dispatch_ptr 0
		.amdhsa_user_sgpr_queue_ptr 0
		.amdhsa_user_sgpr_kernarg_segment_ptr 1
		.amdhsa_user_sgpr_dispatch_id 0
		.amdhsa_user_sgpr_flat_scratch_init 0
		.amdhsa_user_sgpr_kernarg_preload_length 0
		.amdhsa_user_sgpr_kernarg_preload_offset 0
		.amdhsa_user_sgpr_private_segment_size 0
		.amdhsa_uses_dynamic_stack 0
		.amdhsa_system_sgpr_private_segment_wavefront_offset 0
		.amdhsa_system_sgpr_workgroup_id_x 1
		.amdhsa_system_sgpr_workgroup_id_y 0
		.amdhsa_system_sgpr_workgroup_id_z 0
		.amdhsa_system_sgpr_workgroup_info 0
		.amdhsa_system_vgpr_workitem_id 0
		.amdhsa_next_free_vgpr 14
		.amdhsa_next_free_sgpr 6
		.amdhsa_accum_offset 16
		.amdhsa_reserve_vcc 0
		.amdhsa_reserve_flat_scratch 0
		.amdhsa_float_round_mode_32 0
		.amdhsa_float_round_mode_16_64 0
		.amdhsa_float_denorm_mode_32 3
		.amdhsa_float_denorm_mode_16_64 3
		.amdhsa_dx10_clamp 1
		.amdhsa_ieee_mode 1
		.amdhsa_fp16_overflow 0
		.amdhsa_tg_split 0
		.amdhsa_exception_fp_ieee_invalid_op 0
		.amdhsa_exception_fp_denorm_src 0
		.amdhsa_exception_fp_ieee_div_zero 0
		.amdhsa_exception_fp_ieee_overflow 0
		.amdhsa_exception_fp_ieee_underflow 0
		.amdhsa_exception_fp_ieee_inexact 0
		.amdhsa_exception_int_div_zero 0
	.end_amdhsa_kernel
	.section	.text._Z20warp_exchange_kernelILj1024ELj5ELj8ELN6hipcub21WarpExchangeAlgorithmE0E18BlockedToStripedOpdEvPT4_S4_,"axG",@progbits,_Z20warp_exchange_kernelILj1024ELj5ELj8ELN6hipcub21WarpExchangeAlgorithmE0E18BlockedToStripedOpdEvPT4_S4_,comdat
.Lfunc_end101:
	.size	_Z20warp_exchange_kernelILj1024ELj5ELj8ELN6hipcub21WarpExchangeAlgorithmE0E18BlockedToStripedOpdEvPT4_S4_, .Lfunc_end101-_Z20warp_exchange_kernelILj1024ELj5ELj8ELN6hipcub21WarpExchangeAlgorithmE0E18BlockedToStripedOpdEvPT4_S4_
                                        ; -- End function
	.section	.AMDGPU.csdata,"",@progbits
; Kernel info:
; codeLenInByte = 192
; NumSgprs: 10
; NumVgprs: 14
; NumAgprs: 0
; TotalNumVgprs: 14
; ScratchSize: 0
; MemoryBound: 1
; FloatMode: 240
; IeeeMode: 1
; LDSByteSize: 40960 bytes/workgroup (compile time only)
; SGPRBlocks: 1
; VGPRBlocks: 1
; NumSGPRsForWavesPerEU: 10
; NumVGPRsForWavesPerEU: 14
; AccumOffset: 16
; Occupancy: 4
; WaveLimiterHint : 1
; COMPUTE_PGM_RSRC2:SCRATCH_EN: 0
; COMPUTE_PGM_RSRC2:USER_SGPR: 6
; COMPUTE_PGM_RSRC2:TRAP_HANDLER: 0
; COMPUTE_PGM_RSRC2:TGID_X_EN: 1
; COMPUTE_PGM_RSRC2:TGID_Y_EN: 0
; COMPUTE_PGM_RSRC2:TGID_Z_EN: 0
; COMPUTE_PGM_RSRC2:TIDIG_COMP_CNT: 0
; COMPUTE_PGM_RSRC3_GFX90A:ACCUM_OFFSET: 3
; COMPUTE_PGM_RSRC3_GFX90A:TG_SPLIT: 0
	.section	.text._Z20warp_exchange_kernelILj1024ELj4ELj8ELN6hipcub21WarpExchangeAlgorithmE0E18BlockedToStripedOpdEvPT4_S4_,"axG",@progbits,_Z20warp_exchange_kernelILj1024ELj4ELj8ELN6hipcub21WarpExchangeAlgorithmE0E18BlockedToStripedOpdEvPT4_S4_,comdat
	.protected	_Z20warp_exchange_kernelILj1024ELj4ELj8ELN6hipcub21WarpExchangeAlgorithmE0E18BlockedToStripedOpdEvPT4_S4_ ; -- Begin function _Z20warp_exchange_kernelILj1024ELj4ELj8ELN6hipcub21WarpExchangeAlgorithmE0E18BlockedToStripedOpdEvPT4_S4_
	.globl	_Z20warp_exchange_kernelILj1024ELj4ELj8ELN6hipcub21WarpExchangeAlgorithmE0E18BlockedToStripedOpdEvPT4_S4_
	.p2align	8
	.type	_Z20warp_exchange_kernelILj1024ELj4ELj8ELN6hipcub21WarpExchangeAlgorithmE0E18BlockedToStripedOpdEvPT4_S4_,@function
_Z20warp_exchange_kernelILj1024ELj4ELj8ELN6hipcub21WarpExchangeAlgorithmE0E18BlockedToStripedOpdEvPT4_S4_: ; @_Z20warp_exchange_kernelILj1024ELj4ELj8ELN6hipcub21WarpExchangeAlgorithmE0E18BlockedToStripedOpdEvPT4_S4_
; %bb.0:
	s_load_dwordx4 s[0:3], s[4:5], 0x0
	v_lshlrev_b32_e32 v8, 5, v0
	v_mbcnt_lo_u32_b32 v9, -1, 0
	v_mbcnt_hi_u32_b32 v9, -1, v9
	v_and_b32_e32 v9, 7, v9
	s_waitcnt lgkmcnt(0)
	global_load_dwordx4 v[0:3], v8, s[0:1]
	global_load_dwordx4 v[4:7], v8, s[0:1] offset:16
	s_movk_i32 s0, 0x7f00
	v_lshlrev_b32_e32 v10, 5, v9
	s_movk_i32 s1, 0xffe8
	v_and_or_b32 v10, v8, s0, v10
	v_mad_i32_i24 v9, v9, s1, v10
	s_waitcnt vmcnt(1)
	ds_write_b128 v10, v[0:3]
	s_waitcnt vmcnt(0)
	ds_write_b128 v10, v[4:7] offset:16
	; wave barrier
	ds_read2_b64 v[0:3], v9 offset1:8
	ds_read2_b64 v[4:7], v9 offset0:16 offset1:24
	s_waitcnt lgkmcnt(1)
	global_store_dwordx4 v8, v[0:3], s[2:3]
	s_waitcnt lgkmcnt(0)
	global_store_dwordx4 v8, v[4:7], s[2:3] offset:16
	s_endpgm
	.section	.rodata,"a",@progbits
	.p2align	6, 0x0
	.amdhsa_kernel _Z20warp_exchange_kernelILj1024ELj4ELj8ELN6hipcub21WarpExchangeAlgorithmE0E18BlockedToStripedOpdEvPT4_S4_
		.amdhsa_group_segment_fixed_size 32768
		.amdhsa_private_segment_fixed_size 0
		.amdhsa_kernarg_size 16
		.amdhsa_user_sgpr_count 6
		.amdhsa_user_sgpr_private_segment_buffer 1
		.amdhsa_user_sgpr_dispatch_ptr 0
		.amdhsa_user_sgpr_queue_ptr 0
		.amdhsa_user_sgpr_kernarg_segment_ptr 1
		.amdhsa_user_sgpr_dispatch_id 0
		.amdhsa_user_sgpr_flat_scratch_init 0
		.amdhsa_user_sgpr_kernarg_preload_length 0
		.amdhsa_user_sgpr_kernarg_preload_offset 0
		.amdhsa_user_sgpr_private_segment_size 0
		.amdhsa_uses_dynamic_stack 0
		.amdhsa_system_sgpr_private_segment_wavefront_offset 0
		.amdhsa_system_sgpr_workgroup_id_x 1
		.amdhsa_system_sgpr_workgroup_id_y 0
		.amdhsa_system_sgpr_workgroup_id_z 0
		.amdhsa_system_sgpr_workgroup_info 0
		.amdhsa_system_vgpr_workitem_id 0
		.amdhsa_next_free_vgpr 11
		.amdhsa_next_free_sgpr 6
		.amdhsa_accum_offset 12
		.amdhsa_reserve_vcc 0
		.amdhsa_reserve_flat_scratch 0
		.amdhsa_float_round_mode_32 0
		.amdhsa_float_round_mode_16_64 0
		.amdhsa_float_denorm_mode_32 3
		.amdhsa_float_denorm_mode_16_64 3
		.amdhsa_dx10_clamp 1
		.amdhsa_ieee_mode 1
		.amdhsa_fp16_overflow 0
		.amdhsa_tg_split 0
		.amdhsa_exception_fp_ieee_invalid_op 0
		.amdhsa_exception_fp_denorm_src 0
		.amdhsa_exception_fp_ieee_div_zero 0
		.amdhsa_exception_fp_ieee_overflow 0
		.amdhsa_exception_fp_ieee_underflow 0
		.amdhsa_exception_fp_ieee_inexact 0
		.amdhsa_exception_int_div_zero 0
	.end_amdhsa_kernel
	.section	.text._Z20warp_exchange_kernelILj1024ELj4ELj8ELN6hipcub21WarpExchangeAlgorithmE0E18BlockedToStripedOpdEvPT4_S4_,"axG",@progbits,_Z20warp_exchange_kernelILj1024ELj4ELj8ELN6hipcub21WarpExchangeAlgorithmE0E18BlockedToStripedOpdEvPT4_S4_,comdat
.Lfunc_end102:
	.size	_Z20warp_exchange_kernelILj1024ELj4ELj8ELN6hipcub21WarpExchangeAlgorithmE0E18BlockedToStripedOpdEvPT4_S4_, .Lfunc_end102-_Z20warp_exchange_kernelILj1024ELj4ELj8ELN6hipcub21WarpExchangeAlgorithmE0E18BlockedToStripedOpdEvPT4_S4_
                                        ; -- End function
	.section	.AMDGPU.csdata,"",@progbits
; Kernel info:
; codeLenInByte = 148
; NumSgprs: 10
; NumVgprs: 11
; NumAgprs: 0
; TotalNumVgprs: 11
; ScratchSize: 0
; MemoryBound: 1
; FloatMode: 240
; IeeeMode: 1
; LDSByteSize: 32768 bytes/workgroup (compile time only)
; SGPRBlocks: 1
; VGPRBlocks: 1
; NumSGPRsForWavesPerEU: 10
; NumVGPRsForWavesPerEU: 11
; AccumOffset: 12
; Occupancy: 8
; WaveLimiterHint : 1
; COMPUTE_PGM_RSRC2:SCRATCH_EN: 0
; COMPUTE_PGM_RSRC2:USER_SGPR: 6
; COMPUTE_PGM_RSRC2:TRAP_HANDLER: 0
; COMPUTE_PGM_RSRC2:TGID_X_EN: 1
; COMPUTE_PGM_RSRC2:TGID_Y_EN: 0
; COMPUTE_PGM_RSRC2:TGID_Z_EN: 0
; COMPUTE_PGM_RSRC2:TIDIG_COMP_CNT: 0
; COMPUTE_PGM_RSRC3_GFX90A:ACCUM_OFFSET: 2
; COMPUTE_PGM_RSRC3_GFX90A:TG_SPLIT: 0
	.section	.text._Z20warp_exchange_kernelILj1024ELj1ELj8ELN6hipcub21WarpExchangeAlgorithmE0E18BlockedToStripedOpdEvPT4_S4_,"axG",@progbits,_Z20warp_exchange_kernelILj1024ELj1ELj8ELN6hipcub21WarpExchangeAlgorithmE0E18BlockedToStripedOpdEvPT4_S4_,comdat
	.protected	_Z20warp_exchange_kernelILj1024ELj1ELj8ELN6hipcub21WarpExchangeAlgorithmE0E18BlockedToStripedOpdEvPT4_S4_ ; -- Begin function _Z20warp_exchange_kernelILj1024ELj1ELj8ELN6hipcub21WarpExchangeAlgorithmE0E18BlockedToStripedOpdEvPT4_S4_
	.globl	_Z20warp_exchange_kernelILj1024ELj1ELj8ELN6hipcub21WarpExchangeAlgorithmE0E18BlockedToStripedOpdEvPT4_S4_
	.p2align	8
	.type	_Z20warp_exchange_kernelILj1024ELj1ELj8ELN6hipcub21WarpExchangeAlgorithmE0E18BlockedToStripedOpdEvPT4_S4_,@function
_Z20warp_exchange_kernelILj1024ELj1ELj8ELN6hipcub21WarpExchangeAlgorithmE0E18BlockedToStripedOpdEvPT4_S4_: ; @_Z20warp_exchange_kernelILj1024ELj1ELj8ELN6hipcub21WarpExchangeAlgorithmE0E18BlockedToStripedOpdEvPT4_S4_
; %bb.0:
	s_load_dwordx4 s[0:3], s[4:5], 0x0
	v_lshlrev_b32_e32 v2, 3, v0
	v_mbcnt_lo_u32_b32 v3, -1, 0
	v_mbcnt_hi_u32_b32 v3, -1, v3
	v_and_b32_e32 v3, 7, v3
	s_waitcnt lgkmcnt(0)
	global_load_dwordx2 v[0:1], v2, s[0:1]
	s_movk_i32 s0, 0x1fc0
	v_lshlrev_b32_e32 v3, 3, v3
	v_and_or_b32 v3, v2, s0, v3
	s_waitcnt vmcnt(0)
	ds_write_b64 v3, v[0:1]
	; wave barrier
	ds_read_b64 v[0:1], v3
	s_waitcnt lgkmcnt(0)
	global_store_dwordx2 v2, v[0:1], s[2:3]
	s_endpgm
	.section	.rodata,"a",@progbits
	.p2align	6, 0x0
	.amdhsa_kernel _Z20warp_exchange_kernelILj1024ELj1ELj8ELN6hipcub21WarpExchangeAlgorithmE0E18BlockedToStripedOpdEvPT4_S4_
		.amdhsa_group_segment_fixed_size 8192
		.amdhsa_private_segment_fixed_size 0
		.amdhsa_kernarg_size 16
		.amdhsa_user_sgpr_count 6
		.amdhsa_user_sgpr_private_segment_buffer 1
		.amdhsa_user_sgpr_dispatch_ptr 0
		.amdhsa_user_sgpr_queue_ptr 0
		.amdhsa_user_sgpr_kernarg_segment_ptr 1
		.amdhsa_user_sgpr_dispatch_id 0
		.amdhsa_user_sgpr_flat_scratch_init 0
		.amdhsa_user_sgpr_kernarg_preload_length 0
		.amdhsa_user_sgpr_kernarg_preload_offset 0
		.amdhsa_user_sgpr_private_segment_size 0
		.amdhsa_uses_dynamic_stack 0
		.amdhsa_system_sgpr_private_segment_wavefront_offset 0
		.amdhsa_system_sgpr_workgroup_id_x 1
		.amdhsa_system_sgpr_workgroup_id_y 0
		.amdhsa_system_sgpr_workgroup_id_z 0
		.amdhsa_system_sgpr_workgroup_info 0
		.amdhsa_system_vgpr_workitem_id 0
		.amdhsa_next_free_vgpr 4
		.amdhsa_next_free_sgpr 6
		.amdhsa_accum_offset 4
		.amdhsa_reserve_vcc 0
		.amdhsa_reserve_flat_scratch 0
		.amdhsa_float_round_mode_32 0
		.amdhsa_float_round_mode_16_64 0
		.amdhsa_float_denorm_mode_32 3
		.amdhsa_float_denorm_mode_16_64 3
		.amdhsa_dx10_clamp 1
		.amdhsa_ieee_mode 1
		.amdhsa_fp16_overflow 0
		.amdhsa_tg_split 0
		.amdhsa_exception_fp_ieee_invalid_op 0
		.amdhsa_exception_fp_denorm_src 0
		.amdhsa_exception_fp_ieee_div_zero 0
		.amdhsa_exception_fp_ieee_overflow 0
		.amdhsa_exception_fp_ieee_underflow 0
		.amdhsa_exception_fp_ieee_inexact 0
		.amdhsa_exception_int_div_zero 0
	.end_amdhsa_kernel
	.section	.text._Z20warp_exchange_kernelILj1024ELj1ELj8ELN6hipcub21WarpExchangeAlgorithmE0E18BlockedToStripedOpdEvPT4_S4_,"axG",@progbits,_Z20warp_exchange_kernelILj1024ELj1ELj8ELN6hipcub21WarpExchangeAlgorithmE0E18BlockedToStripedOpdEvPT4_S4_,comdat
.Lfunc_end103:
	.size	_Z20warp_exchange_kernelILj1024ELj1ELj8ELN6hipcub21WarpExchangeAlgorithmE0E18BlockedToStripedOpdEvPT4_S4_, .Lfunc_end103-_Z20warp_exchange_kernelILj1024ELj1ELj8ELN6hipcub21WarpExchangeAlgorithmE0E18BlockedToStripedOpdEvPT4_S4_
                                        ; -- End function
	.section	.AMDGPU.csdata,"",@progbits
; Kernel info:
; codeLenInByte = 96
; NumSgprs: 10
; NumVgprs: 4
; NumAgprs: 0
; TotalNumVgprs: 4
; ScratchSize: 0
; MemoryBound: 0
; FloatMode: 240
; IeeeMode: 1
; LDSByteSize: 8192 bytes/workgroup (compile time only)
; SGPRBlocks: 1
; VGPRBlocks: 0
; NumSGPRsForWavesPerEU: 10
; NumVGPRsForWavesPerEU: 4
; AccumOffset: 4
; Occupancy: 8
; WaveLimiterHint : 0
; COMPUTE_PGM_RSRC2:SCRATCH_EN: 0
; COMPUTE_PGM_RSRC2:USER_SGPR: 6
; COMPUTE_PGM_RSRC2:TRAP_HANDLER: 0
; COMPUTE_PGM_RSRC2:TGID_X_EN: 1
; COMPUTE_PGM_RSRC2:TGID_Y_EN: 0
; COMPUTE_PGM_RSRC2:TGID_Z_EN: 0
; COMPUTE_PGM_RSRC2:TIDIG_COMP_CNT: 0
; COMPUTE_PGM_RSRC3_GFX90A:ACCUM_OFFSET: 0
; COMPUTE_PGM_RSRC3_GFX90A:TG_SPLIT: 0
	.section	.text._Z20warp_exchange_kernelILj1024ELj5ELj64ELN6hipcub21WarpExchangeAlgorithmE0E18BlockedToStripedOpiEvPT4_S4_,"axG",@progbits,_Z20warp_exchange_kernelILj1024ELj5ELj64ELN6hipcub21WarpExchangeAlgorithmE0E18BlockedToStripedOpiEvPT4_S4_,comdat
	.protected	_Z20warp_exchange_kernelILj1024ELj5ELj64ELN6hipcub21WarpExchangeAlgorithmE0E18BlockedToStripedOpiEvPT4_S4_ ; -- Begin function _Z20warp_exchange_kernelILj1024ELj5ELj64ELN6hipcub21WarpExchangeAlgorithmE0E18BlockedToStripedOpiEvPT4_S4_
	.globl	_Z20warp_exchange_kernelILj1024ELj5ELj64ELN6hipcub21WarpExchangeAlgorithmE0E18BlockedToStripedOpiEvPT4_S4_
	.p2align	8
	.type	_Z20warp_exchange_kernelILj1024ELj5ELj64ELN6hipcub21WarpExchangeAlgorithmE0E18BlockedToStripedOpiEvPT4_S4_,@function
_Z20warp_exchange_kernelILj1024ELj5ELj64ELN6hipcub21WarpExchangeAlgorithmE0E18BlockedToStripedOpiEvPT4_S4_: ; @_Z20warp_exchange_kernelILj1024ELj5ELj64ELN6hipcub21WarpExchangeAlgorithmE0E18BlockedToStripedOpiEvPT4_S4_
; %bb.0:
	s_load_dwordx4 s[0:3], s[4:5], 0x0
	v_mul_u32_u24_e32 v1, 5, v0
	v_lshlrev_b32_e32 v6, 2, v1
	v_mbcnt_lo_u32_b32 v7, -1, 0
	v_mbcnt_hi_u32_b32 v7, -1, v7
	s_waitcnt lgkmcnt(0)
	global_load_dwordx4 v[2:5], v6, s[0:1]
	global_load_dword v1, v6, s[0:1] offset:16
	s_movk_i32 s0, 0x500
	v_lshrrev_b32_e32 v0, 6, v0
	v_mul_u32_u24_e32 v8, 20, v7
	v_lshlrev_b32_e32 v7, 2, v7
	v_mad_u32_u24 v8, v0, s0, v8
	v_mad_u32_u24 v7, v0, s0, v7
	s_waitcnt vmcnt(1)
	ds_write2_b32 v8, v2, v3 offset1:1
	ds_write2_b32 v8, v4, v5 offset0:2 offset1:3
	s_waitcnt vmcnt(0)
	ds_write_b32 v8, v1 offset:16
	; wave barrier
	ds_read2st64_b32 v[0:1], v7 offset1:1
	ds_read2st64_b32 v[2:3], v7 offset0:2 offset1:3
	ds_read_b32 v4, v7 offset:1024
	s_waitcnt lgkmcnt(1)
	global_store_dwordx4 v6, v[0:3], s[2:3]
	s_waitcnt lgkmcnt(0)
	global_store_dword v6, v4, s[2:3] offset:16
	s_endpgm
	.section	.rodata,"a",@progbits
	.p2align	6, 0x0
	.amdhsa_kernel _Z20warp_exchange_kernelILj1024ELj5ELj64ELN6hipcub21WarpExchangeAlgorithmE0E18BlockedToStripedOpiEvPT4_S4_
		.amdhsa_group_segment_fixed_size 20480
		.amdhsa_private_segment_fixed_size 0
		.amdhsa_kernarg_size 16
		.amdhsa_user_sgpr_count 6
		.amdhsa_user_sgpr_private_segment_buffer 1
		.amdhsa_user_sgpr_dispatch_ptr 0
		.amdhsa_user_sgpr_queue_ptr 0
		.amdhsa_user_sgpr_kernarg_segment_ptr 1
		.amdhsa_user_sgpr_dispatch_id 0
		.amdhsa_user_sgpr_flat_scratch_init 0
		.amdhsa_user_sgpr_kernarg_preload_length 0
		.amdhsa_user_sgpr_kernarg_preload_offset 0
		.amdhsa_user_sgpr_private_segment_size 0
		.amdhsa_uses_dynamic_stack 0
		.amdhsa_system_sgpr_private_segment_wavefront_offset 0
		.amdhsa_system_sgpr_workgroup_id_x 1
		.amdhsa_system_sgpr_workgroup_id_y 0
		.amdhsa_system_sgpr_workgroup_id_z 0
		.amdhsa_system_sgpr_workgroup_info 0
		.amdhsa_system_vgpr_workitem_id 0
		.amdhsa_next_free_vgpr 9
		.amdhsa_next_free_sgpr 6
		.amdhsa_accum_offset 12
		.amdhsa_reserve_vcc 0
		.amdhsa_reserve_flat_scratch 0
		.amdhsa_float_round_mode_32 0
		.amdhsa_float_round_mode_16_64 0
		.amdhsa_float_denorm_mode_32 3
		.amdhsa_float_denorm_mode_16_64 3
		.amdhsa_dx10_clamp 1
		.amdhsa_ieee_mode 1
		.amdhsa_fp16_overflow 0
		.amdhsa_tg_split 0
		.amdhsa_exception_fp_ieee_invalid_op 0
		.amdhsa_exception_fp_denorm_src 0
		.amdhsa_exception_fp_ieee_div_zero 0
		.amdhsa_exception_fp_ieee_overflow 0
		.amdhsa_exception_fp_ieee_underflow 0
		.amdhsa_exception_fp_ieee_inexact 0
		.amdhsa_exception_int_div_zero 0
	.end_amdhsa_kernel
	.section	.text._Z20warp_exchange_kernelILj1024ELj5ELj64ELN6hipcub21WarpExchangeAlgorithmE0E18BlockedToStripedOpiEvPT4_S4_,"axG",@progbits,_Z20warp_exchange_kernelILj1024ELj5ELj64ELN6hipcub21WarpExchangeAlgorithmE0E18BlockedToStripedOpiEvPT4_S4_,comdat
.Lfunc_end104:
	.size	_Z20warp_exchange_kernelILj1024ELj5ELj64ELN6hipcub21WarpExchangeAlgorithmE0E18BlockedToStripedOpiEvPT4_S4_, .Lfunc_end104-_Z20warp_exchange_kernelILj1024ELj5ELj64ELN6hipcub21WarpExchangeAlgorithmE0E18BlockedToStripedOpiEvPT4_S4_
                                        ; -- End function
	.section	.AMDGPU.csdata,"",@progbits
; Kernel info:
; codeLenInByte = 168
; NumSgprs: 10
; NumVgprs: 9
; NumAgprs: 0
; TotalNumVgprs: 9
; ScratchSize: 0
; MemoryBound: 0
; FloatMode: 240
; IeeeMode: 1
; LDSByteSize: 20480 bytes/workgroup (compile time only)
; SGPRBlocks: 1
; VGPRBlocks: 1
; NumSGPRsForWavesPerEU: 10
; NumVGPRsForWavesPerEU: 9
; AccumOffset: 12
; Occupancy: 8
; WaveLimiterHint : 0
; COMPUTE_PGM_RSRC2:SCRATCH_EN: 0
; COMPUTE_PGM_RSRC2:USER_SGPR: 6
; COMPUTE_PGM_RSRC2:TRAP_HANDLER: 0
; COMPUTE_PGM_RSRC2:TGID_X_EN: 1
; COMPUTE_PGM_RSRC2:TGID_Y_EN: 0
; COMPUTE_PGM_RSRC2:TGID_Z_EN: 0
; COMPUTE_PGM_RSRC2:TIDIG_COMP_CNT: 0
; COMPUTE_PGM_RSRC3_GFX90A:ACCUM_OFFSET: 2
; COMPUTE_PGM_RSRC3_GFX90A:TG_SPLIT: 0
	.section	.text._Z20warp_exchange_kernelILj1024ELj4ELj64ELN6hipcub21WarpExchangeAlgorithmE0E18BlockedToStripedOpiEvPT4_S4_,"axG",@progbits,_Z20warp_exchange_kernelILj1024ELj4ELj64ELN6hipcub21WarpExchangeAlgorithmE0E18BlockedToStripedOpiEvPT4_S4_,comdat
	.protected	_Z20warp_exchange_kernelILj1024ELj4ELj64ELN6hipcub21WarpExchangeAlgorithmE0E18BlockedToStripedOpiEvPT4_S4_ ; -- Begin function _Z20warp_exchange_kernelILj1024ELj4ELj64ELN6hipcub21WarpExchangeAlgorithmE0E18BlockedToStripedOpiEvPT4_S4_
	.globl	_Z20warp_exchange_kernelILj1024ELj4ELj64ELN6hipcub21WarpExchangeAlgorithmE0E18BlockedToStripedOpiEvPT4_S4_
	.p2align	8
	.type	_Z20warp_exchange_kernelILj1024ELj4ELj64ELN6hipcub21WarpExchangeAlgorithmE0E18BlockedToStripedOpiEvPT4_S4_,@function
_Z20warp_exchange_kernelILj1024ELj4ELj64ELN6hipcub21WarpExchangeAlgorithmE0E18BlockedToStripedOpiEvPT4_S4_: ; @_Z20warp_exchange_kernelILj1024ELj4ELj64ELN6hipcub21WarpExchangeAlgorithmE0E18BlockedToStripedOpiEvPT4_S4_
; %bb.0:
	s_load_dwordx4 s[0:3], s[4:5], 0x0
	v_lshlrev_b32_e32 v4, 4, v0
	v_mbcnt_lo_u32_b32 v5, -1, 0
	v_mbcnt_hi_u32_b32 v5, -1, v5
	v_and_b32_e32 v6, 0x3c00, v4
	s_waitcnt lgkmcnt(0)
	global_load_dwordx4 v[0:3], v4, s[0:1]
	v_lshl_add_u32 v7, v5, 4, v6
	v_lshl_or_b32 v5, v5, 2, v6
	s_waitcnt vmcnt(0)
	ds_write_b128 v7, v[0:3]
	; wave barrier
	ds_read2st64_b32 v[0:1], v5 offset1:1
	ds_read2st64_b32 v[2:3], v5 offset0:2 offset1:3
	s_waitcnt lgkmcnt(0)
	global_store_dwordx4 v4, v[0:3], s[2:3]
	s_endpgm
	.section	.rodata,"a",@progbits
	.p2align	6, 0x0
	.amdhsa_kernel _Z20warp_exchange_kernelILj1024ELj4ELj64ELN6hipcub21WarpExchangeAlgorithmE0E18BlockedToStripedOpiEvPT4_S4_
		.amdhsa_group_segment_fixed_size 16384
		.amdhsa_private_segment_fixed_size 0
		.amdhsa_kernarg_size 16
		.amdhsa_user_sgpr_count 6
		.amdhsa_user_sgpr_private_segment_buffer 1
		.amdhsa_user_sgpr_dispatch_ptr 0
		.amdhsa_user_sgpr_queue_ptr 0
		.amdhsa_user_sgpr_kernarg_segment_ptr 1
		.amdhsa_user_sgpr_dispatch_id 0
		.amdhsa_user_sgpr_flat_scratch_init 0
		.amdhsa_user_sgpr_kernarg_preload_length 0
		.amdhsa_user_sgpr_kernarg_preload_offset 0
		.amdhsa_user_sgpr_private_segment_size 0
		.amdhsa_uses_dynamic_stack 0
		.amdhsa_system_sgpr_private_segment_wavefront_offset 0
		.amdhsa_system_sgpr_workgroup_id_x 1
		.amdhsa_system_sgpr_workgroup_id_y 0
		.amdhsa_system_sgpr_workgroup_id_z 0
		.amdhsa_system_sgpr_workgroup_info 0
		.amdhsa_system_vgpr_workitem_id 0
		.amdhsa_next_free_vgpr 8
		.amdhsa_next_free_sgpr 6
		.amdhsa_accum_offset 8
		.amdhsa_reserve_vcc 0
		.amdhsa_reserve_flat_scratch 0
		.amdhsa_float_round_mode_32 0
		.amdhsa_float_round_mode_16_64 0
		.amdhsa_float_denorm_mode_32 3
		.amdhsa_float_denorm_mode_16_64 3
		.amdhsa_dx10_clamp 1
		.amdhsa_ieee_mode 1
		.amdhsa_fp16_overflow 0
		.amdhsa_tg_split 0
		.amdhsa_exception_fp_ieee_invalid_op 0
		.amdhsa_exception_fp_denorm_src 0
		.amdhsa_exception_fp_ieee_div_zero 0
		.amdhsa_exception_fp_ieee_overflow 0
		.amdhsa_exception_fp_ieee_underflow 0
		.amdhsa_exception_fp_ieee_inexact 0
		.amdhsa_exception_int_div_zero 0
	.end_amdhsa_kernel
	.section	.text._Z20warp_exchange_kernelILj1024ELj4ELj64ELN6hipcub21WarpExchangeAlgorithmE0E18BlockedToStripedOpiEvPT4_S4_,"axG",@progbits,_Z20warp_exchange_kernelILj1024ELj4ELj64ELN6hipcub21WarpExchangeAlgorithmE0E18BlockedToStripedOpiEvPT4_S4_,comdat
.Lfunc_end105:
	.size	_Z20warp_exchange_kernelILj1024ELj4ELj64ELN6hipcub21WarpExchangeAlgorithmE0E18BlockedToStripedOpiEvPT4_S4_, .Lfunc_end105-_Z20warp_exchange_kernelILj1024ELj4ELj64ELN6hipcub21WarpExchangeAlgorithmE0E18BlockedToStripedOpiEvPT4_S4_
                                        ; -- End function
	.section	.AMDGPU.csdata,"",@progbits
; Kernel info:
; codeLenInByte = 108
; NumSgprs: 10
; NumVgprs: 8
; NumAgprs: 0
; TotalNumVgprs: 8
; ScratchSize: 0
; MemoryBound: 0
; FloatMode: 240
; IeeeMode: 1
; LDSByteSize: 16384 bytes/workgroup (compile time only)
; SGPRBlocks: 1
; VGPRBlocks: 0
; NumSGPRsForWavesPerEU: 10
; NumVGPRsForWavesPerEU: 8
; AccumOffset: 8
; Occupancy: 8
; WaveLimiterHint : 0
; COMPUTE_PGM_RSRC2:SCRATCH_EN: 0
; COMPUTE_PGM_RSRC2:USER_SGPR: 6
; COMPUTE_PGM_RSRC2:TRAP_HANDLER: 0
; COMPUTE_PGM_RSRC2:TGID_X_EN: 1
; COMPUTE_PGM_RSRC2:TGID_Y_EN: 0
; COMPUTE_PGM_RSRC2:TGID_Z_EN: 0
; COMPUTE_PGM_RSRC2:TIDIG_COMP_CNT: 0
; COMPUTE_PGM_RSRC3_GFX90A:ACCUM_OFFSET: 1
; COMPUTE_PGM_RSRC3_GFX90A:TG_SPLIT: 0
	.section	.text._Z20warp_exchange_kernelILj1024ELj1ELj64ELN6hipcub21WarpExchangeAlgorithmE0E18BlockedToStripedOpiEvPT4_S4_,"axG",@progbits,_Z20warp_exchange_kernelILj1024ELj1ELj64ELN6hipcub21WarpExchangeAlgorithmE0E18BlockedToStripedOpiEvPT4_S4_,comdat
	.protected	_Z20warp_exchange_kernelILj1024ELj1ELj64ELN6hipcub21WarpExchangeAlgorithmE0E18BlockedToStripedOpiEvPT4_S4_ ; -- Begin function _Z20warp_exchange_kernelILj1024ELj1ELj64ELN6hipcub21WarpExchangeAlgorithmE0E18BlockedToStripedOpiEvPT4_S4_
	.globl	_Z20warp_exchange_kernelILj1024ELj1ELj64ELN6hipcub21WarpExchangeAlgorithmE0E18BlockedToStripedOpiEvPT4_S4_
	.p2align	8
	.type	_Z20warp_exchange_kernelILj1024ELj1ELj64ELN6hipcub21WarpExchangeAlgorithmE0E18BlockedToStripedOpiEvPT4_S4_,@function
_Z20warp_exchange_kernelILj1024ELj1ELj64ELN6hipcub21WarpExchangeAlgorithmE0E18BlockedToStripedOpiEvPT4_S4_: ; @_Z20warp_exchange_kernelILj1024ELj1ELj64ELN6hipcub21WarpExchangeAlgorithmE0E18BlockedToStripedOpiEvPT4_S4_
; %bb.0:
	s_load_dwordx4 s[0:3], s[4:5], 0x0
	v_lshlrev_b32_e32 v0, 2, v0
	v_mbcnt_lo_u32_b32 v2, -1, 0
	v_mbcnt_hi_u32_b32 v2, -1, v2
	v_and_b32_e32 v3, 0xf00, v0
	s_waitcnt lgkmcnt(0)
	global_load_dword v1, v0, s[0:1]
	v_lshl_add_u32 v2, v2, 2, v3
	s_waitcnt vmcnt(0)
	ds_write_b32 v2, v1
	; wave barrier
	ds_read_b32 v1, v2
	s_waitcnt lgkmcnt(0)
	global_store_dword v0, v1, s[2:3]
	s_endpgm
	.section	.rodata,"a",@progbits
	.p2align	6, 0x0
	.amdhsa_kernel _Z20warp_exchange_kernelILj1024ELj1ELj64ELN6hipcub21WarpExchangeAlgorithmE0E18BlockedToStripedOpiEvPT4_S4_
		.amdhsa_group_segment_fixed_size 4096
		.amdhsa_private_segment_fixed_size 0
		.amdhsa_kernarg_size 16
		.amdhsa_user_sgpr_count 6
		.amdhsa_user_sgpr_private_segment_buffer 1
		.amdhsa_user_sgpr_dispatch_ptr 0
		.amdhsa_user_sgpr_queue_ptr 0
		.amdhsa_user_sgpr_kernarg_segment_ptr 1
		.amdhsa_user_sgpr_dispatch_id 0
		.amdhsa_user_sgpr_flat_scratch_init 0
		.amdhsa_user_sgpr_kernarg_preload_length 0
		.amdhsa_user_sgpr_kernarg_preload_offset 0
		.amdhsa_user_sgpr_private_segment_size 0
		.amdhsa_uses_dynamic_stack 0
		.amdhsa_system_sgpr_private_segment_wavefront_offset 0
		.amdhsa_system_sgpr_workgroup_id_x 1
		.amdhsa_system_sgpr_workgroup_id_y 0
		.amdhsa_system_sgpr_workgroup_id_z 0
		.amdhsa_system_sgpr_workgroup_info 0
		.amdhsa_system_vgpr_workitem_id 0
		.amdhsa_next_free_vgpr 4
		.amdhsa_next_free_sgpr 6
		.amdhsa_accum_offset 4
		.amdhsa_reserve_vcc 0
		.amdhsa_reserve_flat_scratch 0
		.amdhsa_float_round_mode_32 0
		.amdhsa_float_round_mode_16_64 0
		.amdhsa_float_denorm_mode_32 3
		.amdhsa_float_denorm_mode_16_64 3
		.amdhsa_dx10_clamp 1
		.amdhsa_ieee_mode 1
		.amdhsa_fp16_overflow 0
		.amdhsa_tg_split 0
		.amdhsa_exception_fp_ieee_invalid_op 0
		.amdhsa_exception_fp_denorm_src 0
		.amdhsa_exception_fp_ieee_div_zero 0
		.amdhsa_exception_fp_ieee_overflow 0
		.amdhsa_exception_fp_ieee_underflow 0
		.amdhsa_exception_fp_ieee_inexact 0
		.amdhsa_exception_int_div_zero 0
	.end_amdhsa_kernel
	.section	.text._Z20warp_exchange_kernelILj1024ELj1ELj64ELN6hipcub21WarpExchangeAlgorithmE0E18BlockedToStripedOpiEvPT4_S4_,"axG",@progbits,_Z20warp_exchange_kernelILj1024ELj1ELj64ELN6hipcub21WarpExchangeAlgorithmE0E18BlockedToStripedOpiEvPT4_S4_,comdat
.Lfunc_end106:
	.size	_Z20warp_exchange_kernelILj1024ELj1ELj64ELN6hipcub21WarpExchangeAlgorithmE0E18BlockedToStripedOpiEvPT4_S4_, .Lfunc_end106-_Z20warp_exchange_kernelILj1024ELj1ELj64ELN6hipcub21WarpExchangeAlgorithmE0E18BlockedToStripedOpiEvPT4_S4_
                                        ; -- End function
	.section	.AMDGPU.csdata,"",@progbits
; Kernel info:
; codeLenInByte = 92
; NumSgprs: 10
; NumVgprs: 4
; NumAgprs: 0
; TotalNumVgprs: 4
; ScratchSize: 0
; MemoryBound: 0
; FloatMode: 240
; IeeeMode: 1
; LDSByteSize: 4096 bytes/workgroup (compile time only)
; SGPRBlocks: 1
; VGPRBlocks: 0
; NumSGPRsForWavesPerEU: 10
; NumVGPRsForWavesPerEU: 4
; AccumOffset: 4
; Occupancy: 8
; WaveLimiterHint : 0
; COMPUTE_PGM_RSRC2:SCRATCH_EN: 0
; COMPUTE_PGM_RSRC2:USER_SGPR: 6
; COMPUTE_PGM_RSRC2:TRAP_HANDLER: 0
; COMPUTE_PGM_RSRC2:TGID_X_EN: 1
; COMPUTE_PGM_RSRC2:TGID_Y_EN: 0
; COMPUTE_PGM_RSRC2:TGID_Z_EN: 0
; COMPUTE_PGM_RSRC2:TIDIG_COMP_CNT: 0
; COMPUTE_PGM_RSRC3_GFX90A:ACCUM_OFFSET: 0
; COMPUTE_PGM_RSRC3_GFX90A:TG_SPLIT: 0
	.section	.text._Z20warp_exchange_kernelILj1024ELj5ELj32ELN6hipcub21WarpExchangeAlgorithmE0E18BlockedToStripedOpiEvPT4_S4_,"axG",@progbits,_Z20warp_exchange_kernelILj1024ELj5ELj32ELN6hipcub21WarpExchangeAlgorithmE0E18BlockedToStripedOpiEvPT4_S4_,comdat
	.protected	_Z20warp_exchange_kernelILj1024ELj5ELj32ELN6hipcub21WarpExchangeAlgorithmE0E18BlockedToStripedOpiEvPT4_S4_ ; -- Begin function _Z20warp_exchange_kernelILj1024ELj5ELj32ELN6hipcub21WarpExchangeAlgorithmE0E18BlockedToStripedOpiEvPT4_S4_
	.globl	_Z20warp_exchange_kernelILj1024ELj5ELj32ELN6hipcub21WarpExchangeAlgorithmE0E18BlockedToStripedOpiEvPT4_S4_
	.p2align	8
	.type	_Z20warp_exchange_kernelILj1024ELj5ELj32ELN6hipcub21WarpExchangeAlgorithmE0E18BlockedToStripedOpiEvPT4_S4_,@function
_Z20warp_exchange_kernelILj1024ELj5ELj32ELN6hipcub21WarpExchangeAlgorithmE0E18BlockedToStripedOpiEvPT4_S4_: ; @_Z20warp_exchange_kernelILj1024ELj5ELj32ELN6hipcub21WarpExchangeAlgorithmE0E18BlockedToStripedOpiEvPT4_S4_
; %bb.0:
	s_load_dwordx4 s[0:3], s[4:5], 0x0
	v_mul_u32_u24_e32 v1, 5, v0
	v_lshlrev_b32_e32 v6, 2, v1
	v_mbcnt_lo_u32_b32 v7, -1, 0
	v_mbcnt_hi_u32_b32 v7, -1, v7
	s_waitcnt lgkmcnt(0)
	global_load_dwordx4 v[2:5], v6, s[0:1]
	global_load_dword v1, v6, s[0:1] offset:16
	v_and_b32_e32 v7, 31, v7
	s_movk_i32 s0, 0x280
	v_lshrrev_b32_e32 v0, 5, v0
	v_mul_u32_u24_e32 v8, 20, v7
	v_lshlrev_b32_e32 v7, 4, v7
	v_mad_u32_u24 v0, v0, s0, v8
	v_sub_u32_e32 v7, v0, v7
	s_waitcnt vmcnt(1)
	ds_write2_b32 v0, v2, v3 offset1:1
	ds_write2_b32 v0, v4, v5 offset0:2 offset1:3
	s_waitcnt vmcnt(0)
	ds_write_b32 v0, v1 offset:16
	; wave barrier
	ds_read2_b32 v[0:1], v7 offset1:32
	ds_read2_b32 v[2:3], v7 offset0:64 offset1:96
	ds_read_b32 v4, v7 offset:512
	s_waitcnt lgkmcnt(1)
	global_store_dwordx4 v6, v[0:3], s[2:3]
	s_waitcnt lgkmcnt(0)
	global_store_dword v6, v4, s[2:3] offset:16
	s_endpgm
	.section	.rodata,"a",@progbits
	.p2align	6, 0x0
	.amdhsa_kernel _Z20warp_exchange_kernelILj1024ELj5ELj32ELN6hipcub21WarpExchangeAlgorithmE0E18BlockedToStripedOpiEvPT4_S4_
		.amdhsa_group_segment_fixed_size 20480
		.amdhsa_private_segment_fixed_size 0
		.amdhsa_kernarg_size 16
		.amdhsa_user_sgpr_count 6
		.amdhsa_user_sgpr_private_segment_buffer 1
		.amdhsa_user_sgpr_dispatch_ptr 0
		.amdhsa_user_sgpr_queue_ptr 0
		.amdhsa_user_sgpr_kernarg_segment_ptr 1
		.amdhsa_user_sgpr_dispatch_id 0
		.amdhsa_user_sgpr_flat_scratch_init 0
		.amdhsa_user_sgpr_kernarg_preload_length 0
		.amdhsa_user_sgpr_kernarg_preload_offset 0
		.amdhsa_user_sgpr_private_segment_size 0
		.amdhsa_uses_dynamic_stack 0
		.amdhsa_system_sgpr_private_segment_wavefront_offset 0
		.amdhsa_system_sgpr_workgroup_id_x 1
		.amdhsa_system_sgpr_workgroup_id_y 0
		.amdhsa_system_sgpr_workgroup_id_z 0
		.amdhsa_system_sgpr_workgroup_info 0
		.amdhsa_system_vgpr_workitem_id 0
		.amdhsa_next_free_vgpr 9
		.amdhsa_next_free_sgpr 6
		.amdhsa_accum_offset 12
		.amdhsa_reserve_vcc 0
		.amdhsa_reserve_flat_scratch 0
		.amdhsa_float_round_mode_32 0
		.amdhsa_float_round_mode_16_64 0
		.amdhsa_float_denorm_mode_32 3
		.amdhsa_float_denorm_mode_16_64 3
		.amdhsa_dx10_clamp 1
		.amdhsa_ieee_mode 1
		.amdhsa_fp16_overflow 0
		.amdhsa_tg_split 0
		.amdhsa_exception_fp_ieee_invalid_op 0
		.amdhsa_exception_fp_denorm_src 0
		.amdhsa_exception_fp_ieee_div_zero 0
		.amdhsa_exception_fp_ieee_overflow 0
		.amdhsa_exception_fp_ieee_underflow 0
		.amdhsa_exception_fp_ieee_inexact 0
		.amdhsa_exception_int_div_zero 0
	.end_amdhsa_kernel
	.section	.text._Z20warp_exchange_kernelILj1024ELj5ELj32ELN6hipcub21WarpExchangeAlgorithmE0E18BlockedToStripedOpiEvPT4_S4_,"axG",@progbits,_Z20warp_exchange_kernelILj1024ELj5ELj32ELN6hipcub21WarpExchangeAlgorithmE0E18BlockedToStripedOpiEvPT4_S4_,comdat
.Lfunc_end107:
	.size	_Z20warp_exchange_kernelILj1024ELj5ELj32ELN6hipcub21WarpExchangeAlgorithmE0E18BlockedToStripedOpiEvPT4_S4_, .Lfunc_end107-_Z20warp_exchange_kernelILj1024ELj5ELj32ELN6hipcub21WarpExchangeAlgorithmE0E18BlockedToStripedOpiEvPT4_S4_
                                        ; -- End function
	.section	.AMDGPU.csdata,"",@progbits
; Kernel info:
; codeLenInByte = 168
; NumSgprs: 10
; NumVgprs: 9
; NumAgprs: 0
; TotalNumVgprs: 9
; ScratchSize: 0
; MemoryBound: 0
; FloatMode: 240
; IeeeMode: 1
; LDSByteSize: 20480 bytes/workgroup (compile time only)
; SGPRBlocks: 1
; VGPRBlocks: 1
; NumSGPRsForWavesPerEU: 10
; NumVGPRsForWavesPerEU: 9
; AccumOffset: 12
; Occupancy: 8
; WaveLimiterHint : 0
; COMPUTE_PGM_RSRC2:SCRATCH_EN: 0
; COMPUTE_PGM_RSRC2:USER_SGPR: 6
; COMPUTE_PGM_RSRC2:TRAP_HANDLER: 0
; COMPUTE_PGM_RSRC2:TGID_X_EN: 1
; COMPUTE_PGM_RSRC2:TGID_Y_EN: 0
; COMPUTE_PGM_RSRC2:TGID_Z_EN: 0
; COMPUTE_PGM_RSRC2:TIDIG_COMP_CNT: 0
; COMPUTE_PGM_RSRC3_GFX90A:ACCUM_OFFSET: 2
; COMPUTE_PGM_RSRC3_GFX90A:TG_SPLIT: 0
	.section	.text._Z20warp_exchange_kernelILj1024ELj4ELj32ELN6hipcub21WarpExchangeAlgorithmE0E18BlockedToStripedOpiEvPT4_S4_,"axG",@progbits,_Z20warp_exchange_kernelILj1024ELj4ELj32ELN6hipcub21WarpExchangeAlgorithmE0E18BlockedToStripedOpiEvPT4_S4_,comdat
	.protected	_Z20warp_exchange_kernelILj1024ELj4ELj32ELN6hipcub21WarpExchangeAlgorithmE0E18BlockedToStripedOpiEvPT4_S4_ ; -- Begin function _Z20warp_exchange_kernelILj1024ELj4ELj32ELN6hipcub21WarpExchangeAlgorithmE0E18BlockedToStripedOpiEvPT4_S4_
	.globl	_Z20warp_exchange_kernelILj1024ELj4ELj32ELN6hipcub21WarpExchangeAlgorithmE0E18BlockedToStripedOpiEvPT4_S4_
	.p2align	8
	.type	_Z20warp_exchange_kernelILj1024ELj4ELj32ELN6hipcub21WarpExchangeAlgorithmE0E18BlockedToStripedOpiEvPT4_S4_,@function
_Z20warp_exchange_kernelILj1024ELj4ELj32ELN6hipcub21WarpExchangeAlgorithmE0E18BlockedToStripedOpiEvPT4_S4_: ; @_Z20warp_exchange_kernelILj1024ELj4ELj32ELN6hipcub21WarpExchangeAlgorithmE0E18BlockedToStripedOpiEvPT4_S4_
; %bb.0:
	s_load_dwordx4 s[0:3], s[4:5], 0x0
	v_lshlrev_b32_e32 v4, 4, v0
	v_mbcnt_lo_u32_b32 v5, -1, 0
	v_mbcnt_hi_u32_b32 v5, -1, v5
	v_and_b32_e32 v5, 31, v5
	s_waitcnt lgkmcnt(0)
	global_load_dwordx4 v[0:3], v4, s[0:1]
	s_movk_i32 s0, 0x3e00
	v_lshlrev_b32_e32 v6, 4, v5
	v_and_or_b32 v6, v4, s0, v6
	v_mad_i32_i24 v5, v5, -12, v6
	s_waitcnt vmcnt(0)
	ds_write_b128 v6, v[0:3]
	; wave barrier
	ds_read2_b32 v[0:1], v5 offset1:32
	ds_read2_b32 v[2:3], v5 offset0:64 offset1:96
	s_waitcnt lgkmcnt(0)
	global_store_dwordx4 v4, v[0:3], s[2:3]
	s_endpgm
	.section	.rodata,"a",@progbits
	.p2align	6, 0x0
	.amdhsa_kernel _Z20warp_exchange_kernelILj1024ELj4ELj32ELN6hipcub21WarpExchangeAlgorithmE0E18BlockedToStripedOpiEvPT4_S4_
		.amdhsa_group_segment_fixed_size 16384
		.amdhsa_private_segment_fixed_size 0
		.amdhsa_kernarg_size 16
		.amdhsa_user_sgpr_count 6
		.amdhsa_user_sgpr_private_segment_buffer 1
		.amdhsa_user_sgpr_dispatch_ptr 0
		.amdhsa_user_sgpr_queue_ptr 0
		.amdhsa_user_sgpr_kernarg_segment_ptr 1
		.amdhsa_user_sgpr_dispatch_id 0
		.amdhsa_user_sgpr_flat_scratch_init 0
		.amdhsa_user_sgpr_kernarg_preload_length 0
		.amdhsa_user_sgpr_kernarg_preload_offset 0
		.amdhsa_user_sgpr_private_segment_size 0
		.amdhsa_uses_dynamic_stack 0
		.amdhsa_system_sgpr_private_segment_wavefront_offset 0
		.amdhsa_system_sgpr_workgroup_id_x 1
		.amdhsa_system_sgpr_workgroup_id_y 0
		.amdhsa_system_sgpr_workgroup_id_z 0
		.amdhsa_system_sgpr_workgroup_info 0
		.amdhsa_system_vgpr_workitem_id 0
		.amdhsa_next_free_vgpr 7
		.amdhsa_next_free_sgpr 6
		.amdhsa_accum_offset 8
		.amdhsa_reserve_vcc 0
		.amdhsa_reserve_flat_scratch 0
		.amdhsa_float_round_mode_32 0
		.amdhsa_float_round_mode_16_64 0
		.amdhsa_float_denorm_mode_32 3
		.amdhsa_float_denorm_mode_16_64 3
		.amdhsa_dx10_clamp 1
		.amdhsa_ieee_mode 1
		.amdhsa_fp16_overflow 0
		.amdhsa_tg_split 0
		.amdhsa_exception_fp_ieee_invalid_op 0
		.amdhsa_exception_fp_denorm_src 0
		.amdhsa_exception_fp_ieee_div_zero 0
		.amdhsa_exception_fp_ieee_overflow 0
		.amdhsa_exception_fp_ieee_underflow 0
		.amdhsa_exception_fp_ieee_inexact 0
		.amdhsa_exception_int_div_zero 0
	.end_amdhsa_kernel
	.section	.text._Z20warp_exchange_kernelILj1024ELj4ELj32ELN6hipcub21WarpExchangeAlgorithmE0E18BlockedToStripedOpiEvPT4_S4_,"axG",@progbits,_Z20warp_exchange_kernelILj1024ELj4ELj32ELN6hipcub21WarpExchangeAlgorithmE0E18BlockedToStripedOpiEvPT4_S4_,comdat
.Lfunc_end108:
	.size	_Z20warp_exchange_kernelILj1024ELj4ELj32ELN6hipcub21WarpExchangeAlgorithmE0E18BlockedToStripedOpiEvPT4_S4_, .Lfunc_end108-_Z20warp_exchange_kernelILj1024ELj4ELj32ELN6hipcub21WarpExchangeAlgorithmE0E18BlockedToStripedOpiEvPT4_S4_
                                        ; -- End function
	.section	.AMDGPU.csdata,"",@progbits
; Kernel info:
; codeLenInByte = 112
; NumSgprs: 10
; NumVgprs: 7
; NumAgprs: 0
; TotalNumVgprs: 7
; ScratchSize: 0
; MemoryBound: 0
; FloatMode: 240
; IeeeMode: 1
; LDSByteSize: 16384 bytes/workgroup (compile time only)
; SGPRBlocks: 1
; VGPRBlocks: 0
; NumSGPRsForWavesPerEU: 10
; NumVGPRsForWavesPerEU: 7
; AccumOffset: 8
; Occupancy: 8
; WaveLimiterHint : 0
; COMPUTE_PGM_RSRC2:SCRATCH_EN: 0
; COMPUTE_PGM_RSRC2:USER_SGPR: 6
; COMPUTE_PGM_RSRC2:TRAP_HANDLER: 0
; COMPUTE_PGM_RSRC2:TGID_X_EN: 1
; COMPUTE_PGM_RSRC2:TGID_Y_EN: 0
; COMPUTE_PGM_RSRC2:TGID_Z_EN: 0
; COMPUTE_PGM_RSRC2:TIDIG_COMP_CNT: 0
; COMPUTE_PGM_RSRC3_GFX90A:ACCUM_OFFSET: 1
; COMPUTE_PGM_RSRC3_GFX90A:TG_SPLIT: 0
	.section	.text._Z20warp_exchange_kernelILj1024ELj1ELj32ELN6hipcub21WarpExchangeAlgorithmE0E18BlockedToStripedOpiEvPT4_S4_,"axG",@progbits,_Z20warp_exchange_kernelILj1024ELj1ELj32ELN6hipcub21WarpExchangeAlgorithmE0E18BlockedToStripedOpiEvPT4_S4_,comdat
	.protected	_Z20warp_exchange_kernelILj1024ELj1ELj32ELN6hipcub21WarpExchangeAlgorithmE0E18BlockedToStripedOpiEvPT4_S4_ ; -- Begin function _Z20warp_exchange_kernelILj1024ELj1ELj32ELN6hipcub21WarpExchangeAlgorithmE0E18BlockedToStripedOpiEvPT4_S4_
	.globl	_Z20warp_exchange_kernelILj1024ELj1ELj32ELN6hipcub21WarpExchangeAlgorithmE0E18BlockedToStripedOpiEvPT4_S4_
	.p2align	8
	.type	_Z20warp_exchange_kernelILj1024ELj1ELj32ELN6hipcub21WarpExchangeAlgorithmE0E18BlockedToStripedOpiEvPT4_S4_,@function
_Z20warp_exchange_kernelILj1024ELj1ELj32ELN6hipcub21WarpExchangeAlgorithmE0E18BlockedToStripedOpiEvPT4_S4_: ; @_Z20warp_exchange_kernelILj1024ELj1ELj32ELN6hipcub21WarpExchangeAlgorithmE0E18BlockedToStripedOpiEvPT4_S4_
; %bb.0:
	s_load_dwordx4 s[0:3], s[4:5], 0x0
	v_lshlrev_b32_e32 v0, 2, v0
	v_mbcnt_lo_u32_b32 v2, -1, 0
	v_mbcnt_hi_u32_b32 v2, -1, v2
	v_and_b32_e32 v2, 31, v2
	s_waitcnt lgkmcnt(0)
	global_load_dword v1, v0, s[0:1]
	s_movk_i32 s0, 0xf80
	v_lshlrev_b32_e32 v2, 2, v2
	v_and_or_b32 v2, v0, s0, v2
	s_waitcnt vmcnt(0)
	ds_write_b32 v2, v1
	; wave barrier
	ds_read_b32 v1, v2
	s_waitcnt lgkmcnt(0)
	global_store_dword v0, v1, s[2:3]
	s_endpgm
	.section	.rodata,"a",@progbits
	.p2align	6, 0x0
	.amdhsa_kernel _Z20warp_exchange_kernelILj1024ELj1ELj32ELN6hipcub21WarpExchangeAlgorithmE0E18BlockedToStripedOpiEvPT4_S4_
		.amdhsa_group_segment_fixed_size 4096
		.amdhsa_private_segment_fixed_size 0
		.amdhsa_kernarg_size 16
		.amdhsa_user_sgpr_count 6
		.amdhsa_user_sgpr_private_segment_buffer 1
		.amdhsa_user_sgpr_dispatch_ptr 0
		.amdhsa_user_sgpr_queue_ptr 0
		.amdhsa_user_sgpr_kernarg_segment_ptr 1
		.amdhsa_user_sgpr_dispatch_id 0
		.amdhsa_user_sgpr_flat_scratch_init 0
		.amdhsa_user_sgpr_kernarg_preload_length 0
		.amdhsa_user_sgpr_kernarg_preload_offset 0
		.amdhsa_user_sgpr_private_segment_size 0
		.amdhsa_uses_dynamic_stack 0
		.amdhsa_system_sgpr_private_segment_wavefront_offset 0
		.amdhsa_system_sgpr_workgroup_id_x 1
		.amdhsa_system_sgpr_workgroup_id_y 0
		.amdhsa_system_sgpr_workgroup_id_z 0
		.amdhsa_system_sgpr_workgroup_info 0
		.amdhsa_system_vgpr_workitem_id 0
		.amdhsa_next_free_vgpr 3
		.amdhsa_next_free_sgpr 6
		.amdhsa_accum_offset 4
		.amdhsa_reserve_vcc 0
		.amdhsa_reserve_flat_scratch 0
		.amdhsa_float_round_mode_32 0
		.amdhsa_float_round_mode_16_64 0
		.amdhsa_float_denorm_mode_32 3
		.amdhsa_float_denorm_mode_16_64 3
		.amdhsa_dx10_clamp 1
		.amdhsa_ieee_mode 1
		.amdhsa_fp16_overflow 0
		.amdhsa_tg_split 0
		.amdhsa_exception_fp_ieee_invalid_op 0
		.amdhsa_exception_fp_denorm_src 0
		.amdhsa_exception_fp_ieee_div_zero 0
		.amdhsa_exception_fp_ieee_overflow 0
		.amdhsa_exception_fp_ieee_underflow 0
		.amdhsa_exception_fp_ieee_inexact 0
		.amdhsa_exception_int_div_zero 0
	.end_amdhsa_kernel
	.section	.text._Z20warp_exchange_kernelILj1024ELj1ELj32ELN6hipcub21WarpExchangeAlgorithmE0E18BlockedToStripedOpiEvPT4_S4_,"axG",@progbits,_Z20warp_exchange_kernelILj1024ELj1ELj32ELN6hipcub21WarpExchangeAlgorithmE0E18BlockedToStripedOpiEvPT4_S4_,comdat
.Lfunc_end109:
	.size	_Z20warp_exchange_kernelILj1024ELj1ELj32ELN6hipcub21WarpExchangeAlgorithmE0E18BlockedToStripedOpiEvPT4_S4_, .Lfunc_end109-_Z20warp_exchange_kernelILj1024ELj1ELj32ELN6hipcub21WarpExchangeAlgorithmE0E18BlockedToStripedOpiEvPT4_S4_
                                        ; -- End function
	.section	.AMDGPU.csdata,"",@progbits
; Kernel info:
; codeLenInByte = 96
; NumSgprs: 10
; NumVgprs: 3
; NumAgprs: 0
; TotalNumVgprs: 3
; ScratchSize: 0
; MemoryBound: 0
; FloatMode: 240
; IeeeMode: 1
; LDSByteSize: 4096 bytes/workgroup (compile time only)
; SGPRBlocks: 1
; VGPRBlocks: 0
; NumSGPRsForWavesPerEU: 10
; NumVGPRsForWavesPerEU: 3
; AccumOffset: 4
; Occupancy: 8
; WaveLimiterHint : 0
; COMPUTE_PGM_RSRC2:SCRATCH_EN: 0
; COMPUTE_PGM_RSRC2:USER_SGPR: 6
; COMPUTE_PGM_RSRC2:TRAP_HANDLER: 0
; COMPUTE_PGM_RSRC2:TGID_X_EN: 1
; COMPUTE_PGM_RSRC2:TGID_Y_EN: 0
; COMPUTE_PGM_RSRC2:TGID_Z_EN: 0
; COMPUTE_PGM_RSRC2:TIDIG_COMP_CNT: 0
; COMPUTE_PGM_RSRC3_GFX90A:ACCUM_OFFSET: 0
; COMPUTE_PGM_RSRC3_GFX90A:TG_SPLIT: 0
	.section	.text._Z20warp_exchange_kernelILj1024ELj5ELj16ELN6hipcub21WarpExchangeAlgorithmE0E18BlockedToStripedOpiEvPT4_S4_,"axG",@progbits,_Z20warp_exchange_kernelILj1024ELj5ELj16ELN6hipcub21WarpExchangeAlgorithmE0E18BlockedToStripedOpiEvPT4_S4_,comdat
	.protected	_Z20warp_exchange_kernelILj1024ELj5ELj16ELN6hipcub21WarpExchangeAlgorithmE0E18BlockedToStripedOpiEvPT4_S4_ ; -- Begin function _Z20warp_exchange_kernelILj1024ELj5ELj16ELN6hipcub21WarpExchangeAlgorithmE0E18BlockedToStripedOpiEvPT4_S4_
	.globl	_Z20warp_exchange_kernelILj1024ELj5ELj16ELN6hipcub21WarpExchangeAlgorithmE0E18BlockedToStripedOpiEvPT4_S4_
	.p2align	8
	.type	_Z20warp_exchange_kernelILj1024ELj5ELj16ELN6hipcub21WarpExchangeAlgorithmE0E18BlockedToStripedOpiEvPT4_S4_,@function
_Z20warp_exchange_kernelILj1024ELj5ELj16ELN6hipcub21WarpExchangeAlgorithmE0E18BlockedToStripedOpiEvPT4_S4_: ; @_Z20warp_exchange_kernelILj1024ELj5ELj16ELN6hipcub21WarpExchangeAlgorithmE0E18BlockedToStripedOpiEvPT4_S4_
; %bb.0:
	s_load_dwordx4 s[0:3], s[4:5], 0x0
	v_mul_u32_u24_e32 v1, 5, v0
	v_lshlrev_b32_e32 v6, 2, v1
	v_mbcnt_lo_u32_b32 v7, -1, 0
	v_mbcnt_hi_u32_b32 v7, -1, v7
	s_waitcnt lgkmcnt(0)
	global_load_dwordx4 v[2:5], v6, s[0:1]
	global_load_dword v1, v6, s[0:1] offset:16
	v_and_b32_e32 v7, 15, v7
	s_movk_i32 s0, 0x140
	v_lshrrev_b32_e32 v0, 4, v0
	v_mul_u32_u24_e32 v8, 20, v7
	v_lshlrev_b32_e32 v7, 4, v7
	v_mad_u32_u24 v0, v0, s0, v8
	v_sub_u32_e32 v7, v0, v7
	s_waitcnt vmcnt(1)
	ds_write2_b32 v0, v2, v3 offset1:1
	ds_write2_b32 v0, v4, v5 offset0:2 offset1:3
	s_waitcnt vmcnt(0)
	ds_write_b32 v0, v1 offset:16
	; wave barrier
	ds_read2_b32 v[0:1], v7 offset1:16
	ds_read2_b32 v[2:3], v7 offset0:32 offset1:48
	ds_read_b32 v4, v7 offset:256
	s_waitcnt lgkmcnt(1)
	global_store_dwordx4 v6, v[0:3], s[2:3]
	s_waitcnt lgkmcnt(0)
	global_store_dword v6, v4, s[2:3] offset:16
	s_endpgm
	.section	.rodata,"a",@progbits
	.p2align	6, 0x0
	.amdhsa_kernel _Z20warp_exchange_kernelILj1024ELj5ELj16ELN6hipcub21WarpExchangeAlgorithmE0E18BlockedToStripedOpiEvPT4_S4_
		.amdhsa_group_segment_fixed_size 20480
		.amdhsa_private_segment_fixed_size 0
		.amdhsa_kernarg_size 16
		.amdhsa_user_sgpr_count 6
		.amdhsa_user_sgpr_private_segment_buffer 1
		.amdhsa_user_sgpr_dispatch_ptr 0
		.amdhsa_user_sgpr_queue_ptr 0
		.amdhsa_user_sgpr_kernarg_segment_ptr 1
		.amdhsa_user_sgpr_dispatch_id 0
		.amdhsa_user_sgpr_flat_scratch_init 0
		.amdhsa_user_sgpr_kernarg_preload_length 0
		.amdhsa_user_sgpr_kernarg_preload_offset 0
		.amdhsa_user_sgpr_private_segment_size 0
		.amdhsa_uses_dynamic_stack 0
		.amdhsa_system_sgpr_private_segment_wavefront_offset 0
		.amdhsa_system_sgpr_workgroup_id_x 1
		.amdhsa_system_sgpr_workgroup_id_y 0
		.amdhsa_system_sgpr_workgroup_id_z 0
		.amdhsa_system_sgpr_workgroup_info 0
		.amdhsa_system_vgpr_workitem_id 0
		.amdhsa_next_free_vgpr 9
		.amdhsa_next_free_sgpr 6
		.amdhsa_accum_offset 12
		.amdhsa_reserve_vcc 0
		.amdhsa_reserve_flat_scratch 0
		.amdhsa_float_round_mode_32 0
		.amdhsa_float_round_mode_16_64 0
		.amdhsa_float_denorm_mode_32 3
		.amdhsa_float_denorm_mode_16_64 3
		.amdhsa_dx10_clamp 1
		.amdhsa_ieee_mode 1
		.amdhsa_fp16_overflow 0
		.amdhsa_tg_split 0
		.amdhsa_exception_fp_ieee_invalid_op 0
		.amdhsa_exception_fp_denorm_src 0
		.amdhsa_exception_fp_ieee_div_zero 0
		.amdhsa_exception_fp_ieee_overflow 0
		.amdhsa_exception_fp_ieee_underflow 0
		.amdhsa_exception_fp_ieee_inexact 0
		.amdhsa_exception_int_div_zero 0
	.end_amdhsa_kernel
	.section	.text._Z20warp_exchange_kernelILj1024ELj5ELj16ELN6hipcub21WarpExchangeAlgorithmE0E18BlockedToStripedOpiEvPT4_S4_,"axG",@progbits,_Z20warp_exchange_kernelILj1024ELj5ELj16ELN6hipcub21WarpExchangeAlgorithmE0E18BlockedToStripedOpiEvPT4_S4_,comdat
.Lfunc_end110:
	.size	_Z20warp_exchange_kernelILj1024ELj5ELj16ELN6hipcub21WarpExchangeAlgorithmE0E18BlockedToStripedOpiEvPT4_S4_, .Lfunc_end110-_Z20warp_exchange_kernelILj1024ELj5ELj16ELN6hipcub21WarpExchangeAlgorithmE0E18BlockedToStripedOpiEvPT4_S4_
                                        ; -- End function
	.section	.AMDGPU.csdata,"",@progbits
; Kernel info:
; codeLenInByte = 168
; NumSgprs: 10
; NumVgprs: 9
; NumAgprs: 0
; TotalNumVgprs: 9
; ScratchSize: 0
; MemoryBound: 0
; FloatMode: 240
; IeeeMode: 1
; LDSByteSize: 20480 bytes/workgroup (compile time only)
; SGPRBlocks: 1
; VGPRBlocks: 1
; NumSGPRsForWavesPerEU: 10
; NumVGPRsForWavesPerEU: 9
; AccumOffset: 12
; Occupancy: 8
; WaveLimiterHint : 0
; COMPUTE_PGM_RSRC2:SCRATCH_EN: 0
; COMPUTE_PGM_RSRC2:USER_SGPR: 6
; COMPUTE_PGM_RSRC2:TRAP_HANDLER: 0
; COMPUTE_PGM_RSRC2:TGID_X_EN: 1
; COMPUTE_PGM_RSRC2:TGID_Y_EN: 0
; COMPUTE_PGM_RSRC2:TGID_Z_EN: 0
; COMPUTE_PGM_RSRC2:TIDIG_COMP_CNT: 0
; COMPUTE_PGM_RSRC3_GFX90A:ACCUM_OFFSET: 2
; COMPUTE_PGM_RSRC3_GFX90A:TG_SPLIT: 0
	.section	.text._Z20warp_exchange_kernelILj1024ELj4ELj16ELN6hipcub21WarpExchangeAlgorithmE0E18BlockedToStripedOpiEvPT4_S4_,"axG",@progbits,_Z20warp_exchange_kernelILj1024ELj4ELj16ELN6hipcub21WarpExchangeAlgorithmE0E18BlockedToStripedOpiEvPT4_S4_,comdat
	.protected	_Z20warp_exchange_kernelILj1024ELj4ELj16ELN6hipcub21WarpExchangeAlgorithmE0E18BlockedToStripedOpiEvPT4_S4_ ; -- Begin function _Z20warp_exchange_kernelILj1024ELj4ELj16ELN6hipcub21WarpExchangeAlgorithmE0E18BlockedToStripedOpiEvPT4_S4_
	.globl	_Z20warp_exchange_kernelILj1024ELj4ELj16ELN6hipcub21WarpExchangeAlgorithmE0E18BlockedToStripedOpiEvPT4_S4_
	.p2align	8
	.type	_Z20warp_exchange_kernelILj1024ELj4ELj16ELN6hipcub21WarpExchangeAlgorithmE0E18BlockedToStripedOpiEvPT4_S4_,@function
_Z20warp_exchange_kernelILj1024ELj4ELj16ELN6hipcub21WarpExchangeAlgorithmE0E18BlockedToStripedOpiEvPT4_S4_: ; @_Z20warp_exchange_kernelILj1024ELj4ELj16ELN6hipcub21WarpExchangeAlgorithmE0E18BlockedToStripedOpiEvPT4_S4_
; %bb.0:
	s_load_dwordx4 s[0:3], s[4:5], 0x0
	v_lshlrev_b32_e32 v4, 4, v0
	v_mbcnt_lo_u32_b32 v5, -1, 0
	v_mbcnt_hi_u32_b32 v5, -1, v5
	v_and_b32_e32 v5, 15, v5
	s_waitcnt lgkmcnt(0)
	global_load_dwordx4 v[0:3], v4, s[0:1]
	s_movk_i32 s0, 0x3f00
	v_lshlrev_b32_e32 v6, 4, v5
	v_and_or_b32 v6, v4, s0, v6
	v_mad_i32_i24 v5, v5, -12, v6
	s_waitcnt vmcnt(0)
	ds_write_b128 v6, v[0:3]
	; wave barrier
	ds_read2_b32 v[0:1], v5 offset1:16
	ds_read2_b32 v[2:3], v5 offset0:32 offset1:48
	s_waitcnt lgkmcnt(0)
	global_store_dwordx4 v4, v[0:3], s[2:3]
	s_endpgm
	.section	.rodata,"a",@progbits
	.p2align	6, 0x0
	.amdhsa_kernel _Z20warp_exchange_kernelILj1024ELj4ELj16ELN6hipcub21WarpExchangeAlgorithmE0E18BlockedToStripedOpiEvPT4_S4_
		.amdhsa_group_segment_fixed_size 16384
		.amdhsa_private_segment_fixed_size 0
		.amdhsa_kernarg_size 16
		.amdhsa_user_sgpr_count 6
		.amdhsa_user_sgpr_private_segment_buffer 1
		.amdhsa_user_sgpr_dispatch_ptr 0
		.amdhsa_user_sgpr_queue_ptr 0
		.amdhsa_user_sgpr_kernarg_segment_ptr 1
		.amdhsa_user_sgpr_dispatch_id 0
		.amdhsa_user_sgpr_flat_scratch_init 0
		.amdhsa_user_sgpr_kernarg_preload_length 0
		.amdhsa_user_sgpr_kernarg_preload_offset 0
		.amdhsa_user_sgpr_private_segment_size 0
		.amdhsa_uses_dynamic_stack 0
		.amdhsa_system_sgpr_private_segment_wavefront_offset 0
		.amdhsa_system_sgpr_workgroup_id_x 1
		.amdhsa_system_sgpr_workgroup_id_y 0
		.amdhsa_system_sgpr_workgroup_id_z 0
		.amdhsa_system_sgpr_workgroup_info 0
		.amdhsa_system_vgpr_workitem_id 0
		.amdhsa_next_free_vgpr 7
		.amdhsa_next_free_sgpr 6
		.amdhsa_accum_offset 8
		.amdhsa_reserve_vcc 0
		.amdhsa_reserve_flat_scratch 0
		.amdhsa_float_round_mode_32 0
		.amdhsa_float_round_mode_16_64 0
		.amdhsa_float_denorm_mode_32 3
		.amdhsa_float_denorm_mode_16_64 3
		.amdhsa_dx10_clamp 1
		.amdhsa_ieee_mode 1
		.amdhsa_fp16_overflow 0
		.amdhsa_tg_split 0
		.amdhsa_exception_fp_ieee_invalid_op 0
		.amdhsa_exception_fp_denorm_src 0
		.amdhsa_exception_fp_ieee_div_zero 0
		.amdhsa_exception_fp_ieee_overflow 0
		.amdhsa_exception_fp_ieee_underflow 0
		.amdhsa_exception_fp_ieee_inexact 0
		.amdhsa_exception_int_div_zero 0
	.end_amdhsa_kernel
	.section	.text._Z20warp_exchange_kernelILj1024ELj4ELj16ELN6hipcub21WarpExchangeAlgorithmE0E18BlockedToStripedOpiEvPT4_S4_,"axG",@progbits,_Z20warp_exchange_kernelILj1024ELj4ELj16ELN6hipcub21WarpExchangeAlgorithmE0E18BlockedToStripedOpiEvPT4_S4_,comdat
.Lfunc_end111:
	.size	_Z20warp_exchange_kernelILj1024ELj4ELj16ELN6hipcub21WarpExchangeAlgorithmE0E18BlockedToStripedOpiEvPT4_S4_, .Lfunc_end111-_Z20warp_exchange_kernelILj1024ELj4ELj16ELN6hipcub21WarpExchangeAlgorithmE0E18BlockedToStripedOpiEvPT4_S4_
                                        ; -- End function
	.section	.AMDGPU.csdata,"",@progbits
; Kernel info:
; codeLenInByte = 112
; NumSgprs: 10
; NumVgprs: 7
; NumAgprs: 0
; TotalNumVgprs: 7
; ScratchSize: 0
; MemoryBound: 0
; FloatMode: 240
; IeeeMode: 1
; LDSByteSize: 16384 bytes/workgroup (compile time only)
; SGPRBlocks: 1
; VGPRBlocks: 0
; NumSGPRsForWavesPerEU: 10
; NumVGPRsForWavesPerEU: 7
; AccumOffset: 8
; Occupancy: 8
; WaveLimiterHint : 0
; COMPUTE_PGM_RSRC2:SCRATCH_EN: 0
; COMPUTE_PGM_RSRC2:USER_SGPR: 6
; COMPUTE_PGM_RSRC2:TRAP_HANDLER: 0
; COMPUTE_PGM_RSRC2:TGID_X_EN: 1
; COMPUTE_PGM_RSRC2:TGID_Y_EN: 0
; COMPUTE_PGM_RSRC2:TGID_Z_EN: 0
; COMPUTE_PGM_RSRC2:TIDIG_COMP_CNT: 0
; COMPUTE_PGM_RSRC3_GFX90A:ACCUM_OFFSET: 1
; COMPUTE_PGM_RSRC3_GFX90A:TG_SPLIT: 0
	.section	.text._Z20warp_exchange_kernelILj1024ELj1ELj16ELN6hipcub21WarpExchangeAlgorithmE0E18BlockedToStripedOpiEvPT4_S4_,"axG",@progbits,_Z20warp_exchange_kernelILj1024ELj1ELj16ELN6hipcub21WarpExchangeAlgorithmE0E18BlockedToStripedOpiEvPT4_S4_,comdat
	.protected	_Z20warp_exchange_kernelILj1024ELj1ELj16ELN6hipcub21WarpExchangeAlgorithmE0E18BlockedToStripedOpiEvPT4_S4_ ; -- Begin function _Z20warp_exchange_kernelILj1024ELj1ELj16ELN6hipcub21WarpExchangeAlgorithmE0E18BlockedToStripedOpiEvPT4_S4_
	.globl	_Z20warp_exchange_kernelILj1024ELj1ELj16ELN6hipcub21WarpExchangeAlgorithmE0E18BlockedToStripedOpiEvPT4_S4_
	.p2align	8
	.type	_Z20warp_exchange_kernelILj1024ELj1ELj16ELN6hipcub21WarpExchangeAlgorithmE0E18BlockedToStripedOpiEvPT4_S4_,@function
_Z20warp_exchange_kernelILj1024ELj1ELj16ELN6hipcub21WarpExchangeAlgorithmE0E18BlockedToStripedOpiEvPT4_S4_: ; @_Z20warp_exchange_kernelILj1024ELj1ELj16ELN6hipcub21WarpExchangeAlgorithmE0E18BlockedToStripedOpiEvPT4_S4_
; %bb.0:
	s_load_dwordx4 s[0:3], s[4:5], 0x0
	v_lshlrev_b32_e32 v0, 2, v0
	v_mbcnt_lo_u32_b32 v2, -1, 0
	v_mbcnt_hi_u32_b32 v2, -1, v2
	v_and_b32_e32 v2, 15, v2
	s_waitcnt lgkmcnt(0)
	global_load_dword v1, v0, s[0:1]
	s_movk_i32 s0, 0xfc0
	v_lshlrev_b32_e32 v2, 2, v2
	v_and_or_b32 v2, v0, s0, v2
	s_waitcnt vmcnt(0)
	ds_write_b32 v2, v1
	; wave barrier
	ds_read_b32 v1, v2
	s_waitcnt lgkmcnt(0)
	global_store_dword v0, v1, s[2:3]
	s_endpgm
	.section	.rodata,"a",@progbits
	.p2align	6, 0x0
	.amdhsa_kernel _Z20warp_exchange_kernelILj1024ELj1ELj16ELN6hipcub21WarpExchangeAlgorithmE0E18BlockedToStripedOpiEvPT4_S4_
		.amdhsa_group_segment_fixed_size 4096
		.amdhsa_private_segment_fixed_size 0
		.amdhsa_kernarg_size 16
		.amdhsa_user_sgpr_count 6
		.amdhsa_user_sgpr_private_segment_buffer 1
		.amdhsa_user_sgpr_dispatch_ptr 0
		.amdhsa_user_sgpr_queue_ptr 0
		.amdhsa_user_sgpr_kernarg_segment_ptr 1
		.amdhsa_user_sgpr_dispatch_id 0
		.amdhsa_user_sgpr_flat_scratch_init 0
		.amdhsa_user_sgpr_kernarg_preload_length 0
		.amdhsa_user_sgpr_kernarg_preload_offset 0
		.amdhsa_user_sgpr_private_segment_size 0
		.amdhsa_uses_dynamic_stack 0
		.amdhsa_system_sgpr_private_segment_wavefront_offset 0
		.amdhsa_system_sgpr_workgroup_id_x 1
		.amdhsa_system_sgpr_workgroup_id_y 0
		.amdhsa_system_sgpr_workgroup_id_z 0
		.amdhsa_system_sgpr_workgroup_info 0
		.amdhsa_system_vgpr_workitem_id 0
		.amdhsa_next_free_vgpr 3
		.amdhsa_next_free_sgpr 6
		.amdhsa_accum_offset 4
		.amdhsa_reserve_vcc 0
		.amdhsa_reserve_flat_scratch 0
		.amdhsa_float_round_mode_32 0
		.amdhsa_float_round_mode_16_64 0
		.amdhsa_float_denorm_mode_32 3
		.amdhsa_float_denorm_mode_16_64 3
		.amdhsa_dx10_clamp 1
		.amdhsa_ieee_mode 1
		.amdhsa_fp16_overflow 0
		.amdhsa_tg_split 0
		.amdhsa_exception_fp_ieee_invalid_op 0
		.amdhsa_exception_fp_denorm_src 0
		.amdhsa_exception_fp_ieee_div_zero 0
		.amdhsa_exception_fp_ieee_overflow 0
		.amdhsa_exception_fp_ieee_underflow 0
		.amdhsa_exception_fp_ieee_inexact 0
		.amdhsa_exception_int_div_zero 0
	.end_amdhsa_kernel
	.section	.text._Z20warp_exchange_kernelILj1024ELj1ELj16ELN6hipcub21WarpExchangeAlgorithmE0E18BlockedToStripedOpiEvPT4_S4_,"axG",@progbits,_Z20warp_exchange_kernelILj1024ELj1ELj16ELN6hipcub21WarpExchangeAlgorithmE0E18BlockedToStripedOpiEvPT4_S4_,comdat
.Lfunc_end112:
	.size	_Z20warp_exchange_kernelILj1024ELj1ELj16ELN6hipcub21WarpExchangeAlgorithmE0E18BlockedToStripedOpiEvPT4_S4_, .Lfunc_end112-_Z20warp_exchange_kernelILj1024ELj1ELj16ELN6hipcub21WarpExchangeAlgorithmE0E18BlockedToStripedOpiEvPT4_S4_
                                        ; -- End function
	.section	.AMDGPU.csdata,"",@progbits
; Kernel info:
; codeLenInByte = 96
; NumSgprs: 10
; NumVgprs: 3
; NumAgprs: 0
; TotalNumVgprs: 3
; ScratchSize: 0
; MemoryBound: 0
; FloatMode: 240
; IeeeMode: 1
; LDSByteSize: 4096 bytes/workgroup (compile time only)
; SGPRBlocks: 1
; VGPRBlocks: 0
; NumSGPRsForWavesPerEU: 10
; NumVGPRsForWavesPerEU: 3
; AccumOffset: 4
; Occupancy: 8
; WaveLimiterHint : 0
; COMPUTE_PGM_RSRC2:SCRATCH_EN: 0
; COMPUTE_PGM_RSRC2:USER_SGPR: 6
; COMPUTE_PGM_RSRC2:TRAP_HANDLER: 0
; COMPUTE_PGM_RSRC2:TGID_X_EN: 1
; COMPUTE_PGM_RSRC2:TGID_Y_EN: 0
; COMPUTE_PGM_RSRC2:TGID_Z_EN: 0
; COMPUTE_PGM_RSRC2:TIDIG_COMP_CNT: 0
; COMPUTE_PGM_RSRC3_GFX90A:ACCUM_OFFSET: 0
; COMPUTE_PGM_RSRC3_GFX90A:TG_SPLIT: 0
	.section	.text._Z20warp_exchange_kernelILj1024ELj5ELj8ELN6hipcub21WarpExchangeAlgorithmE0E18BlockedToStripedOpiEvPT4_S4_,"axG",@progbits,_Z20warp_exchange_kernelILj1024ELj5ELj8ELN6hipcub21WarpExchangeAlgorithmE0E18BlockedToStripedOpiEvPT4_S4_,comdat
	.protected	_Z20warp_exchange_kernelILj1024ELj5ELj8ELN6hipcub21WarpExchangeAlgorithmE0E18BlockedToStripedOpiEvPT4_S4_ ; -- Begin function _Z20warp_exchange_kernelILj1024ELj5ELj8ELN6hipcub21WarpExchangeAlgorithmE0E18BlockedToStripedOpiEvPT4_S4_
	.globl	_Z20warp_exchange_kernelILj1024ELj5ELj8ELN6hipcub21WarpExchangeAlgorithmE0E18BlockedToStripedOpiEvPT4_S4_
	.p2align	8
	.type	_Z20warp_exchange_kernelILj1024ELj5ELj8ELN6hipcub21WarpExchangeAlgorithmE0E18BlockedToStripedOpiEvPT4_S4_,@function
_Z20warp_exchange_kernelILj1024ELj5ELj8ELN6hipcub21WarpExchangeAlgorithmE0E18BlockedToStripedOpiEvPT4_S4_: ; @_Z20warp_exchange_kernelILj1024ELj5ELj8ELN6hipcub21WarpExchangeAlgorithmE0E18BlockedToStripedOpiEvPT4_S4_
; %bb.0:
	s_load_dwordx4 s[0:3], s[4:5], 0x0
	v_mul_u32_u24_e32 v1, 5, v0
	v_lshlrev_b32_e32 v6, 2, v1
	v_mbcnt_lo_u32_b32 v7, -1, 0
	v_mbcnt_hi_u32_b32 v7, -1, v7
	s_waitcnt lgkmcnt(0)
	global_load_dwordx4 v[2:5], v6, s[0:1]
	global_load_dword v1, v6, s[0:1] offset:16
	v_and_b32_e32 v7, 7, v7
	s_movk_i32 s0, 0xa0
	v_lshrrev_b32_e32 v0, 3, v0
	v_mul_u32_u24_e32 v8, 20, v7
	v_lshlrev_b32_e32 v7, 4, v7
	v_mad_u32_u24 v0, v0, s0, v8
	v_sub_u32_e32 v7, v0, v7
	s_waitcnt vmcnt(1)
	ds_write2_b32 v0, v2, v3 offset1:1
	ds_write2_b32 v0, v4, v5 offset0:2 offset1:3
	s_waitcnt vmcnt(0)
	ds_write_b32 v0, v1 offset:16
	; wave barrier
	ds_read2_b32 v[0:1], v7 offset1:8
	ds_read2_b32 v[2:3], v7 offset0:16 offset1:24
	ds_read_b32 v4, v7 offset:128
	s_waitcnt lgkmcnt(1)
	global_store_dwordx4 v6, v[0:3], s[2:3]
	s_waitcnt lgkmcnt(0)
	global_store_dword v6, v4, s[2:3] offset:16
	s_endpgm
	.section	.rodata,"a",@progbits
	.p2align	6, 0x0
	.amdhsa_kernel _Z20warp_exchange_kernelILj1024ELj5ELj8ELN6hipcub21WarpExchangeAlgorithmE0E18BlockedToStripedOpiEvPT4_S4_
		.amdhsa_group_segment_fixed_size 20480
		.amdhsa_private_segment_fixed_size 0
		.amdhsa_kernarg_size 16
		.amdhsa_user_sgpr_count 6
		.amdhsa_user_sgpr_private_segment_buffer 1
		.amdhsa_user_sgpr_dispatch_ptr 0
		.amdhsa_user_sgpr_queue_ptr 0
		.amdhsa_user_sgpr_kernarg_segment_ptr 1
		.amdhsa_user_sgpr_dispatch_id 0
		.amdhsa_user_sgpr_flat_scratch_init 0
		.amdhsa_user_sgpr_kernarg_preload_length 0
		.amdhsa_user_sgpr_kernarg_preload_offset 0
		.amdhsa_user_sgpr_private_segment_size 0
		.amdhsa_uses_dynamic_stack 0
		.amdhsa_system_sgpr_private_segment_wavefront_offset 0
		.amdhsa_system_sgpr_workgroup_id_x 1
		.amdhsa_system_sgpr_workgroup_id_y 0
		.amdhsa_system_sgpr_workgroup_id_z 0
		.amdhsa_system_sgpr_workgroup_info 0
		.amdhsa_system_vgpr_workitem_id 0
		.amdhsa_next_free_vgpr 9
		.amdhsa_next_free_sgpr 6
		.amdhsa_accum_offset 12
		.amdhsa_reserve_vcc 0
		.amdhsa_reserve_flat_scratch 0
		.amdhsa_float_round_mode_32 0
		.amdhsa_float_round_mode_16_64 0
		.amdhsa_float_denorm_mode_32 3
		.amdhsa_float_denorm_mode_16_64 3
		.amdhsa_dx10_clamp 1
		.amdhsa_ieee_mode 1
		.amdhsa_fp16_overflow 0
		.amdhsa_tg_split 0
		.amdhsa_exception_fp_ieee_invalid_op 0
		.amdhsa_exception_fp_denorm_src 0
		.amdhsa_exception_fp_ieee_div_zero 0
		.amdhsa_exception_fp_ieee_overflow 0
		.amdhsa_exception_fp_ieee_underflow 0
		.amdhsa_exception_fp_ieee_inexact 0
		.amdhsa_exception_int_div_zero 0
	.end_amdhsa_kernel
	.section	.text._Z20warp_exchange_kernelILj1024ELj5ELj8ELN6hipcub21WarpExchangeAlgorithmE0E18BlockedToStripedOpiEvPT4_S4_,"axG",@progbits,_Z20warp_exchange_kernelILj1024ELj5ELj8ELN6hipcub21WarpExchangeAlgorithmE0E18BlockedToStripedOpiEvPT4_S4_,comdat
.Lfunc_end113:
	.size	_Z20warp_exchange_kernelILj1024ELj5ELj8ELN6hipcub21WarpExchangeAlgorithmE0E18BlockedToStripedOpiEvPT4_S4_, .Lfunc_end113-_Z20warp_exchange_kernelILj1024ELj5ELj8ELN6hipcub21WarpExchangeAlgorithmE0E18BlockedToStripedOpiEvPT4_S4_
                                        ; -- End function
	.section	.AMDGPU.csdata,"",@progbits
; Kernel info:
; codeLenInByte = 168
; NumSgprs: 10
; NumVgprs: 9
; NumAgprs: 0
; TotalNumVgprs: 9
; ScratchSize: 0
; MemoryBound: 0
; FloatMode: 240
; IeeeMode: 1
; LDSByteSize: 20480 bytes/workgroup (compile time only)
; SGPRBlocks: 1
; VGPRBlocks: 1
; NumSGPRsForWavesPerEU: 10
; NumVGPRsForWavesPerEU: 9
; AccumOffset: 12
; Occupancy: 8
; WaveLimiterHint : 0
; COMPUTE_PGM_RSRC2:SCRATCH_EN: 0
; COMPUTE_PGM_RSRC2:USER_SGPR: 6
; COMPUTE_PGM_RSRC2:TRAP_HANDLER: 0
; COMPUTE_PGM_RSRC2:TGID_X_EN: 1
; COMPUTE_PGM_RSRC2:TGID_Y_EN: 0
; COMPUTE_PGM_RSRC2:TGID_Z_EN: 0
; COMPUTE_PGM_RSRC2:TIDIG_COMP_CNT: 0
; COMPUTE_PGM_RSRC3_GFX90A:ACCUM_OFFSET: 2
; COMPUTE_PGM_RSRC3_GFX90A:TG_SPLIT: 0
	.section	.text._Z20warp_exchange_kernelILj1024ELj4ELj8ELN6hipcub21WarpExchangeAlgorithmE0E18BlockedToStripedOpiEvPT4_S4_,"axG",@progbits,_Z20warp_exchange_kernelILj1024ELj4ELj8ELN6hipcub21WarpExchangeAlgorithmE0E18BlockedToStripedOpiEvPT4_S4_,comdat
	.protected	_Z20warp_exchange_kernelILj1024ELj4ELj8ELN6hipcub21WarpExchangeAlgorithmE0E18BlockedToStripedOpiEvPT4_S4_ ; -- Begin function _Z20warp_exchange_kernelILj1024ELj4ELj8ELN6hipcub21WarpExchangeAlgorithmE0E18BlockedToStripedOpiEvPT4_S4_
	.globl	_Z20warp_exchange_kernelILj1024ELj4ELj8ELN6hipcub21WarpExchangeAlgorithmE0E18BlockedToStripedOpiEvPT4_S4_
	.p2align	8
	.type	_Z20warp_exchange_kernelILj1024ELj4ELj8ELN6hipcub21WarpExchangeAlgorithmE0E18BlockedToStripedOpiEvPT4_S4_,@function
_Z20warp_exchange_kernelILj1024ELj4ELj8ELN6hipcub21WarpExchangeAlgorithmE0E18BlockedToStripedOpiEvPT4_S4_: ; @_Z20warp_exchange_kernelILj1024ELj4ELj8ELN6hipcub21WarpExchangeAlgorithmE0E18BlockedToStripedOpiEvPT4_S4_
; %bb.0:
	s_load_dwordx4 s[0:3], s[4:5], 0x0
	v_lshlrev_b32_e32 v4, 4, v0
	v_mbcnt_lo_u32_b32 v5, -1, 0
	v_mbcnt_hi_u32_b32 v5, -1, v5
	v_and_b32_e32 v5, 7, v5
	s_waitcnt lgkmcnt(0)
	global_load_dwordx4 v[0:3], v4, s[0:1]
	s_movk_i32 s0, 0x3f80
	v_lshlrev_b32_e32 v6, 4, v5
	v_and_or_b32 v6, v4, s0, v6
	v_mad_i32_i24 v5, v5, -12, v6
	s_waitcnt vmcnt(0)
	ds_write_b128 v6, v[0:3]
	; wave barrier
	ds_read2_b32 v[0:1], v5 offset1:8
	ds_read2_b32 v[2:3], v5 offset0:16 offset1:24
	s_waitcnt lgkmcnt(0)
	global_store_dwordx4 v4, v[0:3], s[2:3]
	s_endpgm
	.section	.rodata,"a",@progbits
	.p2align	6, 0x0
	.amdhsa_kernel _Z20warp_exchange_kernelILj1024ELj4ELj8ELN6hipcub21WarpExchangeAlgorithmE0E18BlockedToStripedOpiEvPT4_S4_
		.amdhsa_group_segment_fixed_size 16384
		.amdhsa_private_segment_fixed_size 0
		.amdhsa_kernarg_size 16
		.amdhsa_user_sgpr_count 6
		.amdhsa_user_sgpr_private_segment_buffer 1
		.amdhsa_user_sgpr_dispatch_ptr 0
		.amdhsa_user_sgpr_queue_ptr 0
		.amdhsa_user_sgpr_kernarg_segment_ptr 1
		.amdhsa_user_sgpr_dispatch_id 0
		.amdhsa_user_sgpr_flat_scratch_init 0
		.amdhsa_user_sgpr_kernarg_preload_length 0
		.amdhsa_user_sgpr_kernarg_preload_offset 0
		.amdhsa_user_sgpr_private_segment_size 0
		.amdhsa_uses_dynamic_stack 0
		.amdhsa_system_sgpr_private_segment_wavefront_offset 0
		.amdhsa_system_sgpr_workgroup_id_x 1
		.amdhsa_system_sgpr_workgroup_id_y 0
		.amdhsa_system_sgpr_workgroup_id_z 0
		.amdhsa_system_sgpr_workgroup_info 0
		.amdhsa_system_vgpr_workitem_id 0
		.amdhsa_next_free_vgpr 7
		.amdhsa_next_free_sgpr 6
		.amdhsa_accum_offset 8
		.amdhsa_reserve_vcc 0
		.amdhsa_reserve_flat_scratch 0
		.amdhsa_float_round_mode_32 0
		.amdhsa_float_round_mode_16_64 0
		.amdhsa_float_denorm_mode_32 3
		.amdhsa_float_denorm_mode_16_64 3
		.amdhsa_dx10_clamp 1
		.amdhsa_ieee_mode 1
		.amdhsa_fp16_overflow 0
		.amdhsa_tg_split 0
		.amdhsa_exception_fp_ieee_invalid_op 0
		.amdhsa_exception_fp_denorm_src 0
		.amdhsa_exception_fp_ieee_div_zero 0
		.amdhsa_exception_fp_ieee_overflow 0
		.amdhsa_exception_fp_ieee_underflow 0
		.amdhsa_exception_fp_ieee_inexact 0
		.amdhsa_exception_int_div_zero 0
	.end_amdhsa_kernel
	.section	.text._Z20warp_exchange_kernelILj1024ELj4ELj8ELN6hipcub21WarpExchangeAlgorithmE0E18BlockedToStripedOpiEvPT4_S4_,"axG",@progbits,_Z20warp_exchange_kernelILj1024ELj4ELj8ELN6hipcub21WarpExchangeAlgorithmE0E18BlockedToStripedOpiEvPT4_S4_,comdat
.Lfunc_end114:
	.size	_Z20warp_exchange_kernelILj1024ELj4ELj8ELN6hipcub21WarpExchangeAlgorithmE0E18BlockedToStripedOpiEvPT4_S4_, .Lfunc_end114-_Z20warp_exchange_kernelILj1024ELj4ELj8ELN6hipcub21WarpExchangeAlgorithmE0E18BlockedToStripedOpiEvPT4_S4_
                                        ; -- End function
	.section	.AMDGPU.csdata,"",@progbits
; Kernel info:
; codeLenInByte = 112
; NumSgprs: 10
; NumVgprs: 7
; NumAgprs: 0
; TotalNumVgprs: 7
; ScratchSize: 0
; MemoryBound: 0
; FloatMode: 240
; IeeeMode: 1
; LDSByteSize: 16384 bytes/workgroup (compile time only)
; SGPRBlocks: 1
; VGPRBlocks: 0
; NumSGPRsForWavesPerEU: 10
; NumVGPRsForWavesPerEU: 7
; AccumOffset: 8
; Occupancy: 8
; WaveLimiterHint : 0
; COMPUTE_PGM_RSRC2:SCRATCH_EN: 0
; COMPUTE_PGM_RSRC2:USER_SGPR: 6
; COMPUTE_PGM_RSRC2:TRAP_HANDLER: 0
; COMPUTE_PGM_RSRC2:TGID_X_EN: 1
; COMPUTE_PGM_RSRC2:TGID_Y_EN: 0
; COMPUTE_PGM_RSRC2:TGID_Z_EN: 0
; COMPUTE_PGM_RSRC2:TIDIG_COMP_CNT: 0
; COMPUTE_PGM_RSRC3_GFX90A:ACCUM_OFFSET: 1
; COMPUTE_PGM_RSRC3_GFX90A:TG_SPLIT: 0
	.section	.text._Z20warp_exchange_kernelILj1024ELj1ELj8ELN6hipcub21WarpExchangeAlgorithmE0E18BlockedToStripedOpiEvPT4_S4_,"axG",@progbits,_Z20warp_exchange_kernelILj1024ELj1ELj8ELN6hipcub21WarpExchangeAlgorithmE0E18BlockedToStripedOpiEvPT4_S4_,comdat
	.protected	_Z20warp_exchange_kernelILj1024ELj1ELj8ELN6hipcub21WarpExchangeAlgorithmE0E18BlockedToStripedOpiEvPT4_S4_ ; -- Begin function _Z20warp_exchange_kernelILj1024ELj1ELj8ELN6hipcub21WarpExchangeAlgorithmE0E18BlockedToStripedOpiEvPT4_S4_
	.globl	_Z20warp_exchange_kernelILj1024ELj1ELj8ELN6hipcub21WarpExchangeAlgorithmE0E18BlockedToStripedOpiEvPT4_S4_
	.p2align	8
	.type	_Z20warp_exchange_kernelILj1024ELj1ELj8ELN6hipcub21WarpExchangeAlgorithmE0E18BlockedToStripedOpiEvPT4_S4_,@function
_Z20warp_exchange_kernelILj1024ELj1ELj8ELN6hipcub21WarpExchangeAlgorithmE0E18BlockedToStripedOpiEvPT4_S4_: ; @_Z20warp_exchange_kernelILj1024ELj1ELj8ELN6hipcub21WarpExchangeAlgorithmE0E18BlockedToStripedOpiEvPT4_S4_
; %bb.0:
	s_load_dwordx4 s[0:3], s[4:5], 0x0
	v_lshlrev_b32_e32 v0, 2, v0
	v_mbcnt_lo_u32_b32 v2, -1, 0
	v_mbcnt_hi_u32_b32 v2, -1, v2
	v_and_b32_e32 v2, 7, v2
	s_waitcnt lgkmcnt(0)
	global_load_dword v1, v0, s[0:1]
	s_movk_i32 s0, 0xfe0
	v_lshlrev_b32_e32 v2, 2, v2
	v_and_or_b32 v2, v0, s0, v2
	s_waitcnt vmcnt(0)
	ds_write_b32 v2, v1
	; wave barrier
	ds_read_b32 v1, v2
	s_waitcnt lgkmcnt(0)
	global_store_dword v0, v1, s[2:3]
	s_endpgm
	.section	.rodata,"a",@progbits
	.p2align	6, 0x0
	.amdhsa_kernel _Z20warp_exchange_kernelILj1024ELj1ELj8ELN6hipcub21WarpExchangeAlgorithmE0E18BlockedToStripedOpiEvPT4_S4_
		.amdhsa_group_segment_fixed_size 4096
		.amdhsa_private_segment_fixed_size 0
		.amdhsa_kernarg_size 16
		.amdhsa_user_sgpr_count 6
		.amdhsa_user_sgpr_private_segment_buffer 1
		.amdhsa_user_sgpr_dispatch_ptr 0
		.amdhsa_user_sgpr_queue_ptr 0
		.amdhsa_user_sgpr_kernarg_segment_ptr 1
		.amdhsa_user_sgpr_dispatch_id 0
		.amdhsa_user_sgpr_flat_scratch_init 0
		.amdhsa_user_sgpr_kernarg_preload_length 0
		.amdhsa_user_sgpr_kernarg_preload_offset 0
		.amdhsa_user_sgpr_private_segment_size 0
		.amdhsa_uses_dynamic_stack 0
		.amdhsa_system_sgpr_private_segment_wavefront_offset 0
		.amdhsa_system_sgpr_workgroup_id_x 1
		.amdhsa_system_sgpr_workgroup_id_y 0
		.amdhsa_system_sgpr_workgroup_id_z 0
		.amdhsa_system_sgpr_workgroup_info 0
		.amdhsa_system_vgpr_workitem_id 0
		.amdhsa_next_free_vgpr 3
		.amdhsa_next_free_sgpr 6
		.amdhsa_accum_offset 4
		.amdhsa_reserve_vcc 0
		.amdhsa_reserve_flat_scratch 0
		.amdhsa_float_round_mode_32 0
		.amdhsa_float_round_mode_16_64 0
		.amdhsa_float_denorm_mode_32 3
		.amdhsa_float_denorm_mode_16_64 3
		.amdhsa_dx10_clamp 1
		.amdhsa_ieee_mode 1
		.amdhsa_fp16_overflow 0
		.amdhsa_tg_split 0
		.amdhsa_exception_fp_ieee_invalid_op 0
		.amdhsa_exception_fp_denorm_src 0
		.amdhsa_exception_fp_ieee_div_zero 0
		.amdhsa_exception_fp_ieee_overflow 0
		.amdhsa_exception_fp_ieee_underflow 0
		.amdhsa_exception_fp_ieee_inexact 0
		.amdhsa_exception_int_div_zero 0
	.end_amdhsa_kernel
	.section	.text._Z20warp_exchange_kernelILj1024ELj1ELj8ELN6hipcub21WarpExchangeAlgorithmE0E18BlockedToStripedOpiEvPT4_S4_,"axG",@progbits,_Z20warp_exchange_kernelILj1024ELj1ELj8ELN6hipcub21WarpExchangeAlgorithmE0E18BlockedToStripedOpiEvPT4_S4_,comdat
.Lfunc_end115:
	.size	_Z20warp_exchange_kernelILj1024ELj1ELj8ELN6hipcub21WarpExchangeAlgorithmE0E18BlockedToStripedOpiEvPT4_S4_, .Lfunc_end115-_Z20warp_exchange_kernelILj1024ELj1ELj8ELN6hipcub21WarpExchangeAlgorithmE0E18BlockedToStripedOpiEvPT4_S4_
                                        ; -- End function
	.section	.AMDGPU.csdata,"",@progbits
; Kernel info:
; codeLenInByte = 96
; NumSgprs: 10
; NumVgprs: 3
; NumAgprs: 0
; TotalNumVgprs: 3
; ScratchSize: 0
; MemoryBound: 0
; FloatMode: 240
; IeeeMode: 1
; LDSByteSize: 4096 bytes/workgroup (compile time only)
; SGPRBlocks: 1
; VGPRBlocks: 0
; NumSGPRsForWavesPerEU: 10
; NumVGPRsForWavesPerEU: 3
; AccumOffset: 4
; Occupancy: 8
; WaveLimiterHint : 0
; COMPUTE_PGM_RSRC2:SCRATCH_EN: 0
; COMPUTE_PGM_RSRC2:USER_SGPR: 6
; COMPUTE_PGM_RSRC2:TRAP_HANDLER: 0
; COMPUTE_PGM_RSRC2:TGID_X_EN: 1
; COMPUTE_PGM_RSRC2:TGID_Y_EN: 0
; COMPUTE_PGM_RSRC2:TGID_Z_EN: 0
; COMPUTE_PGM_RSRC2:TIDIG_COMP_CNT: 0
; COMPUTE_PGM_RSRC3_GFX90A:ACCUM_OFFSET: 0
; COMPUTE_PGM_RSRC3_GFX90A:TG_SPLIT: 0
	.section	.text._Z20warp_exchange_kernelILj1024ELj5ELj64ELN6hipcub21WarpExchangeAlgorithmE0E18BlockedToStripedOpcEvPT4_S4_,"axG",@progbits,_Z20warp_exchange_kernelILj1024ELj5ELj64ELN6hipcub21WarpExchangeAlgorithmE0E18BlockedToStripedOpcEvPT4_S4_,comdat
	.protected	_Z20warp_exchange_kernelILj1024ELj5ELj64ELN6hipcub21WarpExchangeAlgorithmE0E18BlockedToStripedOpcEvPT4_S4_ ; -- Begin function _Z20warp_exchange_kernelILj1024ELj5ELj64ELN6hipcub21WarpExchangeAlgorithmE0E18BlockedToStripedOpcEvPT4_S4_
	.globl	_Z20warp_exchange_kernelILj1024ELj5ELj64ELN6hipcub21WarpExchangeAlgorithmE0E18BlockedToStripedOpcEvPT4_S4_
	.p2align	8
	.type	_Z20warp_exchange_kernelILj1024ELj5ELj64ELN6hipcub21WarpExchangeAlgorithmE0E18BlockedToStripedOpcEvPT4_S4_,@function
_Z20warp_exchange_kernelILj1024ELj5ELj64ELN6hipcub21WarpExchangeAlgorithmE0E18BlockedToStripedOpcEvPT4_S4_: ; @_Z20warp_exchange_kernelILj1024ELj5ELj64ELN6hipcub21WarpExchangeAlgorithmE0E18BlockedToStripedOpcEvPT4_S4_
; %bb.0:
	s_load_dwordx4 s[0:3], s[4:5], 0x0
	v_mul_u32_u24_e32 v1, 5, v0
	v_mbcnt_lo_u32_b32 v4, -1, 0
	v_mbcnt_hi_u32_b32 v4, -1, v4
	v_lshrrev_b32_e32 v0, 6, v0
	s_waitcnt lgkmcnt(0)
	global_load_dword v2, v1, s[0:1]
	global_load_sbyte v3, v1, s[0:1] offset:4
	s_movk_i32 s0, 0x140
	v_mul_u32_u24_e32 v5, 5, v4
	v_mad_u32_u24 v4, v0, s0, v4
	v_mad_u32_u24 v0, v0, s0, v5
	s_waitcnt vmcnt(1)
	ds_write_b32 v0, v2
	s_waitcnt vmcnt(0)
	ds_write_b8 v0, v3 offset:4
	; wave barrier
	ds_read_u8 v0, v4 offset:64
	ds_read_u8 v2, v4 offset:192
	ds_read_u8 v3, v4
	ds_read_u8 v5, v4 offset:128
	ds_read_u8 v4, v4 offset:256
	s_waitcnt lgkmcnt(4)
	v_lshlrev_b16_e32 v0, 8, v0
	s_waitcnt lgkmcnt(3)
	v_lshlrev_b16_e32 v2, 8, v2
	s_waitcnt lgkmcnt(2)
	v_or_b32_e32 v0, v3, v0
	s_waitcnt lgkmcnt(1)
	v_or_b32_sdwa v2, v5, v2 dst_sel:WORD_1 dst_unused:UNUSED_PAD src0_sel:DWORD src1_sel:DWORD
	v_or_b32_sdwa v0, v0, v2 dst_sel:DWORD dst_unused:UNUSED_PAD src0_sel:WORD_0 src1_sel:DWORD
	s_waitcnt lgkmcnt(0)
	global_store_byte v1, v4, s[2:3] offset:4
	global_store_dword v1, v0, s[2:3]
	s_endpgm
	.section	.rodata,"a",@progbits
	.p2align	6, 0x0
	.amdhsa_kernel _Z20warp_exchange_kernelILj1024ELj5ELj64ELN6hipcub21WarpExchangeAlgorithmE0E18BlockedToStripedOpcEvPT4_S4_
		.amdhsa_group_segment_fixed_size 5120
		.amdhsa_private_segment_fixed_size 0
		.amdhsa_kernarg_size 16
		.amdhsa_user_sgpr_count 6
		.amdhsa_user_sgpr_private_segment_buffer 1
		.amdhsa_user_sgpr_dispatch_ptr 0
		.amdhsa_user_sgpr_queue_ptr 0
		.amdhsa_user_sgpr_kernarg_segment_ptr 1
		.amdhsa_user_sgpr_dispatch_id 0
		.amdhsa_user_sgpr_flat_scratch_init 0
		.amdhsa_user_sgpr_kernarg_preload_length 0
		.amdhsa_user_sgpr_kernarg_preload_offset 0
		.amdhsa_user_sgpr_private_segment_size 0
		.amdhsa_uses_dynamic_stack 0
		.amdhsa_system_sgpr_private_segment_wavefront_offset 0
		.amdhsa_system_sgpr_workgroup_id_x 1
		.amdhsa_system_sgpr_workgroup_id_y 0
		.amdhsa_system_sgpr_workgroup_id_z 0
		.amdhsa_system_sgpr_workgroup_info 0
		.amdhsa_system_vgpr_workitem_id 0
		.amdhsa_next_free_vgpr 6
		.amdhsa_next_free_sgpr 6
		.amdhsa_accum_offset 8
		.amdhsa_reserve_vcc 0
		.amdhsa_reserve_flat_scratch 0
		.amdhsa_float_round_mode_32 0
		.amdhsa_float_round_mode_16_64 0
		.amdhsa_float_denorm_mode_32 3
		.amdhsa_float_denorm_mode_16_64 3
		.amdhsa_dx10_clamp 1
		.amdhsa_ieee_mode 1
		.amdhsa_fp16_overflow 0
		.amdhsa_tg_split 0
		.amdhsa_exception_fp_ieee_invalid_op 0
		.amdhsa_exception_fp_denorm_src 0
		.amdhsa_exception_fp_ieee_div_zero 0
		.amdhsa_exception_fp_ieee_overflow 0
		.amdhsa_exception_fp_ieee_underflow 0
		.amdhsa_exception_fp_ieee_inexact 0
		.amdhsa_exception_int_div_zero 0
	.end_amdhsa_kernel
	.section	.text._Z20warp_exchange_kernelILj1024ELj5ELj64ELN6hipcub21WarpExchangeAlgorithmE0E18BlockedToStripedOpcEvPT4_S4_,"axG",@progbits,_Z20warp_exchange_kernelILj1024ELj5ELj64ELN6hipcub21WarpExchangeAlgorithmE0E18BlockedToStripedOpcEvPT4_S4_,comdat
.Lfunc_end116:
	.size	_Z20warp_exchange_kernelILj1024ELj5ELj64ELN6hipcub21WarpExchangeAlgorithmE0E18BlockedToStripedOpcEvPT4_S4_, .Lfunc_end116-_Z20warp_exchange_kernelILj1024ELj5ELj64ELN6hipcub21WarpExchangeAlgorithmE0E18BlockedToStripedOpcEvPT4_S4_
                                        ; -- End function
	.section	.AMDGPU.csdata,"",@progbits
; Kernel info:
; codeLenInByte = 208
; NumSgprs: 10
; NumVgprs: 6
; NumAgprs: 0
; TotalNumVgprs: 6
; ScratchSize: 0
; MemoryBound: 0
; FloatMode: 240
; IeeeMode: 1
; LDSByteSize: 5120 bytes/workgroup (compile time only)
; SGPRBlocks: 1
; VGPRBlocks: 0
; NumSGPRsForWavesPerEU: 10
; NumVGPRsForWavesPerEU: 6
; AccumOffset: 8
; Occupancy: 8
; WaveLimiterHint : 0
; COMPUTE_PGM_RSRC2:SCRATCH_EN: 0
; COMPUTE_PGM_RSRC2:USER_SGPR: 6
; COMPUTE_PGM_RSRC2:TRAP_HANDLER: 0
; COMPUTE_PGM_RSRC2:TGID_X_EN: 1
; COMPUTE_PGM_RSRC2:TGID_Y_EN: 0
; COMPUTE_PGM_RSRC2:TGID_Z_EN: 0
; COMPUTE_PGM_RSRC2:TIDIG_COMP_CNT: 0
; COMPUTE_PGM_RSRC3_GFX90A:ACCUM_OFFSET: 1
; COMPUTE_PGM_RSRC3_GFX90A:TG_SPLIT: 0
	.section	.text._Z20warp_exchange_kernelILj1024ELj4ELj64ELN6hipcub21WarpExchangeAlgorithmE0E18BlockedToStripedOpcEvPT4_S4_,"axG",@progbits,_Z20warp_exchange_kernelILj1024ELj4ELj64ELN6hipcub21WarpExchangeAlgorithmE0E18BlockedToStripedOpcEvPT4_S4_,comdat
	.protected	_Z20warp_exchange_kernelILj1024ELj4ELj64ELN6hipcub21WarpExchangeAlgorithmE0E18BlockedToStripedOpcEvPT4_S4_ ; -- Begin function _Z20warp_exchange_kernelILj1024ELj4ELj64ELN6hipcub21WarpExchangeAlgorithmE0E18BlockedToStripedOpcEvPT4_S4_
	.globl	_Z20warp_exchange_kernelILj1024ELj4ELj64ELN6hipcub21WarpExchangeAlgorithmE0E18BlockedToStripedOpcEvPT4_S4_
	.p2align	8
	.type	_Z20warp_exchange_kernelILj1024ELj4ELj64ELN6hipcub21WarpExchangeAlgorithmE0E18BlockedToStripedOpcEvPT4_S4_,@function
_Z20warp_exchange_kernelILj1024ELj4ELj64ELN6hipcub21WarpExchangeAlgorithmE0E18BlockedToStripedOpcEvPT4_S4_: ; @_Z20warp_exchange_kernelILj1024ELj4ELj64ELN6hipcub21WarpExchangeAlgorithmE0E18BlockedToStripedOpcEvPT4_S4_
; %bb.0:
	s_load_dwordx4 s[0:3], s[4:5], 0x0
	v_lshlrev_b32_e32 v0, 2, v0
	v_mbcnt_lo_u32_b32 v2, -1, 0
	v_mbcnt_hi_u32_b32 v2, -1, v2
	v_and_b32_e32 v3, 0xf00, v0
	s_waitcnt lgkmcnt(0)
	global_load_dword v1, v0, s[0:1]
	v_lshl_add_u32 v4, v2, 2, v3
	v_or_b32_e32 v2, v3, v2
	s_waitcnt vmcnt(0)
	ds_write_b32 v4, v1
	; wave barrier
	ds_read_u8 v1, v2 offset:64
	ds_read_u8 v3, v2 offset:192
	ds_read_u8 v4, v2
	ds_read_u8 v2, v2 offset:128
	s_waitcnt lgkmcnt(3)
	v_lshlrev_b16_e32 v1, 8, v1
	s_waitcnt lgkmcnt(2)
	v_lshlrev_b16_e32 v3, 8, v3
	s_waitcnt lgkmcnt(1)
	v_or_b32_e32 v1, v4, v1
	s_waitcnt lgkmcnt(0)
	v_or_b32_sdwa v2, v2, v3 dst_sel:WORD_1 dst_unused:UNUSED_PAD src0_sel:DWORD src1_sel:DWORD
	v_or_b32_sdwa v1, v1, v2 dst_sel:DWORD dst_unused:UNUSED_PAD src0_sel:WORD_0 src1_sel:DWORD
	global_store_dword v0, v1, s[2:3]
	s_endpgm
	.section	.rodata,"a",@progbits
	.p2align	6, 0x0
	.amdhsa_kernel _Z20warp_exchange_kernelILj1024ELj4ELj64ELN6hipcub21WarpExchangeAlgorithmE0E18BlockedToStripedOpcEvPT4_S4_
		.amdhsa_group_segment_fixed_size 4096
		.amdhsa_private_segment_fixed_size 0
		.amdhsa_kernarg_size 16
		.amdhsa_user_sgpr_count 6
		.amdhsa_user_sgpr_private_segment_buffer 1
		.amdhsa_user_sgpr_dispatch_ptr 0
		.amdhsa_user_sgpr_queue_ptr 0
		.amdhsa_user_sgpr_kernarg_segment_ptr 1
		.amdhsa_user_sgpr_dispatch_id 0
		.amdhsa_user_sgpr_flat_scratch_init 0
		.amdhsa_user_sgpr_kernarg_preload_length 0
		.amdhsa_user_sgpr_kernarg_preload_offset 0
		.amdhsa_user_sgpr_private_segment_size 0
		.amdhsa_uses_dynamic_stack 0
		.amdhsa_system_sgpr_private_segment_wavefront_offset 0
		.amdhsa_system_sgpr_workgroup_id_x 1
		.amdhsa_system_sgpr_workgroup_id_y 0
		.amdhsa_system_sgpr_workgroup_id_z 0
		.amdhsa_system_sgpr_workgroup_info 0
		.amdhsa_system_vgpr_workitem_id 0
		.amdhsa_next_free_vgpr 5
		.amdhsa_next_free_sgpr 6
		.amdhsa_accum_offset 8
		.amdhsa_reserve_vcc 0
		.amdhsa_reserve_flat_scratch 0
		.amdhsa_float_round_mode_32 0
		.amdhsa_float_round_mode_16_64 0
		.amdhsa_float_denorm_mode_32 3
		.amdhsa_float_denorm_mode_16_64 3
		.amdhsa_dx10_clamp 1
		.amdhsa_ieee_mode 1
		.amdhsa_fp16_overflow 0
		.amdhsa_tg_split 0
		.amdhsa_exception_fp_ieee_invalid_op 0
		.amdhsa_exception_fp_denorm_src 0
		.amdhsa_exception_fp_ieee_div_zero 0
		.amdhsa_exception_fp_ieee_overflow 0
		.amdhsa_exception_fp_ieee_underflow 0
		.amdhsa_exception_fp_ieee_inexact 0
		.amdhsa_exception_int_div_zero 0
	.end_amdhsa_kernel
	.section	.text._Z20warp_exchange_kernelILj1024ELj4ELj64ELN6hipcub21WarpExchangeAlgorithmE0E18BlockedToStripedOpcEvPT4_S4_,"axG",@progbits,_Z20warp_exchange_kernelILj1024ELj4ELj64ELN6hipcub21WarpExchangeAlgorithmE0E18BlockedToStripedOpcEvPT4_S4_,comdat
.Lfunc_end117:
	.size	_Z20warp_exchange_kernelILj1024ELj4ELj64ELN6hipcub21WarpExchangeAlgorithmE0E18BlockedToStripedOpcEvPT4_S4_, .Lfunc_end117-_Z20warp_exchange_kernelILj1024ELj4ELj64ELN6hipcub21WarpExchangeAlgorithmE0E18BlockedToStripedOpcEvPT4_S4_
                                        ; -- End function
	.section	.AMDGPU.csdata,"",@progbits
; Kernel info:
; codeLenInByte = 160
; NumSgprs: 10
; NumVgprs: 5
; NumAgprs: 0
; TotalNumVgprs: 5
; ScratchSize: 0
; MemoryBound: 0
; FloatMode: 240
; IeeeMode: 1
; LDSByteSize: 4096 bytes/workgroup (compile time only)
; SGPRBlocks: 1
; VGPRBlocks: 0
; NumSGPRsForWavesPerEU: 10
; NumVGPRsForWavesPerEU: 5
; AccumOffset: 8
; Occupancy: 8
; WaveLimiterHint : 0
; COMPUTE_PGM_RSRC2:SCRATCH_EN: 0
; COMPUTE_PGM_RSRC2:USER_SGPR: 6
; COMPUTE_PGM_RSRC2:TRAP_HANDLER: 0
; COMPUTE_PGM_RSRC2:TGID_X_EN: 1
; COMPUTE_PGM_RSRC2:TGID_Y_EN: 0
; COMPUTE_PGM_RSRC2:TGID_Z_EN: 0
; COMPUTE_PGM_RSRC2:TIDIG_COMP_CNT: 0
; COMPUTE_PGM_RSRC3_GFX90A:ACCUM_OFFSET: 1
; COMPUTE_PGM_RSRC3_GFX90A:TG_SPLIT: 0
	.section	.text._Z20warp_exchange_kernelILj1024ELj1ELj64ELN6hipcub21WarpExchangeAlgorithmE0E18BlockedToStripedOpcEvPT4_S4_,"axG",@progbits,_Z20warp_exchange_kernelILj1024ELj1ELj64ELN6hipcub21WarpExchangeAlgorithmE0E18BlockedToStripedOpcEvPT4_S4_,comdat
	.protected	_Z20warp_exchange_kernelILj1024ELj1ELj64ELN6hipcub21WarpExchangeAlgorithmE0E18BlockedToStripedOpcEvPT4_S4_ ; -- Begin function _Z20warp_exchange_kernelILj1024ELj1ELj64ELN6hipcub21WarpExchangeAlgorithmE0E18BlockedToStripedOpcEvPT4_S4_
	.globl	_Z20warp_exchange_kernelILj1024ELj1ELj64ELN6hipcub21WarpExchangeAlgorithmE0E18BlockedToStripedOpcEvPT4_S4_
	.p2align	8
	.type	_Z20warp_exchange_kernelILj1024ELj1ELj64ELN6hipcub21WarpExchangeAlgorithmE0E18BlockedToStripedOpcEvPT4_S4_,@function
_Z20warp_exchange_kernelILj1024ELj1ELj64ELN6hipcub21WarpExchangeAlgorithmE0E18BlockedToStripedOpcEvPT4_S4_: ; @_Z20warp_exchange_kernelILj1024ELj1ELj64ELN6hipcub21WarpExchangeAlgorithmE0E18BlockedToStripedOpcEvPT4_S4_
; %bb.0:
	s_load_dwordx4 s[0:3], s[4:5], 0x0
	v_mbcnt_lo_u32_b32 v2, -1, 0
	v_and_b32_e32 v3, 0x3c0, v0
	v_mbcnt_hi_u32_b32 v2, -1, v2
	v_add_u32_e32 v2, v3, v2
	s_waitcnt lgkmcnt(0)
	global_load_ubyte v1, v0, s[0:1]
	s_waitcnt vmcnt(0)
	ds_write_b8 v2, v1
	; wave barrier
	ds_read_u8 v1, v2
	s_waitcnt lgkmcnt(0)
	global_store_byte v0, v1, s[2:3]
	s_endpgm
	.section	.rodata,"a",@progbits
	.p2align	6, 0x0
	.amdhsa_kernel _Z20warp_exchange_kernelILj1024ELj1ELj64ELN6hipcub21WarpExchangeAlgorithmE0E18BlockedToStripedOpcEvPT4_S4_
		.amdhsa_group_segment_fixed_size 1024
		.amdhsa_private_segment_fixed_size 0
		.amdhsa_kernarg_size 16
		.amdhsa_user_sgpr_count 6
		.amdhsa_user_sgpr_private_segment_buffer 1
		.amdhsa_user_sgpr_dispatch_ptr 0
		.amdhsa_user_sgpr_queue_ptr 0
		.amdhsa_user_sgpr_kernarg_segment_ptr 1
		.amdhsa_user_sgpr_dispatch_id 0
		.amdhsa_user_sgpr_flat_scratch_init 0
		.amdhsa_user_sgpr_kernarg_preload_length 0
		.amdhsa_user_sgpr_kernarg_preload_offset 0
		.amdhsa_user_sgpr_private_segment_size 0
		.amdhsa_uses_dynamic_stack 0
		.amdhsa_system_sgpr_private_segment_wavefront_offset 0
		.amdhsa_system_sgpr_workgroup_id_x 1
		.amdhsa_system_sgpr_workgroup_id_y 0
		.amdhsa_system_sgpr_workgroup_id_z 0
		.amdhsa_system_sgpr_workgroup_info 0
		.amdhsa_system_vgpr_workitem_id 0
		.amdhsa_next_free_vgpr 4
		.amdhsa_next_free_sgpr 6
		.amdhsa_accum_offset 4
		.amdhsa_reserve_vcc 0
		.amdhsa_reserve_flat_scratch 0
		.amdhsa_float_round_mode_32 0
		.amdhsa_float_round_mode_16_64 0
		.amdhsa_float_denorm_mode_32 3
		.amdhsa_float_denorm_mode_16_64 3
		.amdhsa_dx10_clamp 1
		.amdhsa_ieee_mode 1
		.amdhsa_fp16_overflow 0
		.amdhsa_tg_split 0
		.amdhsa_exception_fp_ieee_invalid_op 0
		.amdhsa_exception_fp_denorm_src 0
		.amdhsa_exception_fp_ieee_div_zero 0
		.amdhsa_exception_fp_ieee_overflow 0
		.amdhsa_exception_fp_ieee_underflow 0
		.amdhsa_exception_fp_ieee_inexact 0
		.amdhsa_exception_int_div_zero 0
	.end_amdhsa_kernel
	.section	.text._Z20warp_exchange_kernelILj1024ELj1ELj64ELN6hipcub21WarpExchangeAlgorithmE0E18BlockedToStripedOpcEvPT4_S4_,"axG",@progbits,_Z20warp_exchange_kernelILj1024ELj1ELj64ELN6hipcub21WarpExchangeAlgorithmE0E18BlockedToStripedOpcEvPT4_S4_,comdat
.Lfunc_end118:
	.size	_Z20warp_exchange_kernelILj1024ELj1ELj64ELN6hipcub21WarpExchangeAlgorithmE0E18BlockedToStripedOpcEvPT4_S4_, .Lfunc_end118-_Z20warp_exchange_kernelILj1024ELj1ELj64ELN6hipcub21WarpExchangeAlgorithmE0E18BlockedToStripedOpcEvPT4_S4_
                                        ; -- End function
	.section	.AMDGPU.csdata,"",@progbits
; Kernel info:
; codeLenInByte = 84
; NumSgprs: 10
; NumVgprs: 4
; NumAgprs: 0
; TotalNumVgprs: 4
; ScratchSize: 0
; MemoryBound: 0
; FloatMode: 240
; IeeeMode: 1
; LDSByteSize: 1024 bytes/workgroup (compile time only)
; SGPRBlocks: 1
; VGPRBlocks: 0
; NumSGPRsForWavesPerEU: 10
; NumVGPRsForWavesPerEU: 4
; AccumOffset: 4
; Occupancy: 8
; WaveLimiterHint : 0
; COMPUTE_PGM_RSRC2:SCRATCH_EN: 0
; COMPUTE_PGM_RSRC2:USER_SGPR: 6
; COMPUTE_PGM_RSRC2:TRAP_HANDLER: 0
; COMPUTE_PGM_RSRC2:TGID_X_EN: 1
; COMPUTE_PGM_RSRC2:TGID_Y_EN: 0
; COMPUTE_PGM_RSRC2:TGID_Z_EN: 0
; COMPUTE_PGM_RSRC2:TIDIG_COMP_CNT: 0
; COMPUTE_PGM_RSRC3_GFX90A:ACCUM_OFFSET: 0
; COMPUTE_PGM_RSRC3_GFX90A:TG_SPLIT: 0
	.section	.text._Z20warp_exchange_kernelILj1024ELj5ELj32ELN6hipcub21WarpExchangeAlgorithmE0E18BlockedToStripedOpcEvPT4_S4_,"axG",@progbits,_Z20warp_exchange_kernelILj1024ELj5ELj32ELN6hipcub21WarpExchangeAlgorithmE0E18BlockedToStripedOpcEvPT4_S4_,comdat
	.protected	_Z20warp_exchange_kernelILj1024ELj5ELj32ELN6hipcub21WarpExchangeAlgorithmE0E18BlockedToStripedOpcEvPT4_S4_ ; -- Begin function _Z20warp_exchange_kernelILj1024ELj5ELj32ELN6hipcub21WarpExchangeAlgorithmE0E18BlockedToStripedOpcEvPT4_S4_
	.globl	_Z20warp_exchange_kernelILj1024ELj5ELj32ELN6hipcub21WarpExchangeAlgorithmE0E18BlockedToStripedOpcEvPT4_S4_
	.p2align	8
	.type	_Z20warp_exchange_kernelILj1024ELj5ELj32ELN6hipcub21WarpExchangeAlgorithmE0E18BlockedToStripedOpcEvPT4_S4_,@function
_Z20warp_exchange_kernelILj1024ELj5ELj32ELN6hipcub21WarpExchangeAlgorithmE0E18BlockedToStripedOpcEvPT4_S4_: ; @_Z20warp_exchange_kernelILj1024ELj5ELj32ELN6hipcub21WarpExchangeAlgorithmE0E18BlockedToStripedOpcEvPT4_S4_
; %bb.0:
	s_load_dwordx4 s[0:3], s[4:5], 0x0
	v_mul_u32_u24_e32 v1, 5, v0
	v_mbcnt_lo_u32_b32 v4, -1, 0
	v_mbcnt_hi_u32_b32 v4, -1, v4
	v_lshrrev_b32_e32 v0, 5, v0
	s_waitcnt lgkmcnt(0)
	global_load_dword v2, v1, s[0:1]
	global_load_sbyte v3, v1, s[0:1] offset:4
	v_and_b32_e32 v4, 31, v4
	s_movk_i32 s0, 0xa0
	v_mul_u32_u24_e32 v5, 0xa0, v0
	v_mul_u32_u24_e32 v6, 5, v4
	v_or_b32_e32 v4, v5, v4
	v_mad_u32_u24 v0, v0, s0, v6
	s_waitcnt vmcnt(1)
	ds_write_b32 v0, v2
	s_waitcnt vmcnt(0)
	ds_write_b8 v0, v3 offset:4
	; wave barrier
	ds_read_u8 v0, v4 offset:32
	ds_read_u8 v2, v4 offset:96
	ds_read_u8 v3, v4
	ds_read_u8 v5, v4 offset:64
	ds_read_u8 v4, v4 offset:128
	s_waitcnt lgkmcnt(4)
	v_lshlrev_b16_e32 v0, 8, v0
	s_waitcnt lgkmcnt(3)
	v_lshlrev_b16_e32 v2, 8, v2
	s_waitcnt lgkmcnt(2)
	v_or_b32_e32 v0, v3, v0
	s_waitcnt lgkmcnt(1)
	v_or_b32_sdwa v2, v5, v2 dst_sel:WORD_1 dst_unused:UNUSED_PAD src0_sel:DWORD src1_sel:DWORD
	v_or_b32_sdwa v0, v0, v2 dst_sel:DWORD dst_unused:UNUSED_PAD src0_sel:WORD_0 src1_sel:DWORD
	s_waitcnt lgkmcnt(0)
	global_store_byte v1, v4, s[2:3] offset:4
	global_store_dword v1, v0, s[2:3]
	s_endpgm
	.section	.rodata,"a",@progbits
	.p2align	6, 0x0
	.amdhsa_kernel _Z20warp_exchange_kernelILj1024ELj5ELj32ELN6hipcub21WarpExchangeAlgorithmE0E18BlockedToStripedOpcEvPT4_S4_
		.amdhsa_group_segment_fixed_size 5120
		.amdhsa_private_segment_fixed_size 0
		.amdhsa_kernarg_size 16
		.amdhsa_user_sgpr_count 6
		.amdhsa_user_sgpr_private_segment_buffer 1
		.amdhsa_user_sgpr_dispatch_ptr 0
		.amdhsa_user_sgpr_queue_ptr 0
		.amdhsa_user_sgpr_kernarg_segment_ptr 1
		.amdhsa_user_sgpr_dispatch_id 0
		.amdhsa_user_sgpr_flat_scratch_init 0
		.amdhsa_user_sgpr_kernarg_preload_length 0
		.amdhsa_user_sgpr_kernarg_preload_offset 0
		.amdhsa_user_sgpr_private_segment_size 0
		.amdhsa_uses_dynamic_stack 0
		.amdhsa_system_sgpr_private_segment_wavefront_offset 0
		.amdhsa_system_sgpr_workgroup_id_x 1
		.amdhsa_system_sgpr_workgroup_id_y 0
		.amdhsa_system_sgpr_workgroup_id_z 0
		.amdhsa_system_sgpr_workgroup_info 0
		.amdhsa_system_vgpr_workitem_id 0
		.amdhsa_next_free_vgpr 7
		.amdhsa_next_free_sgpr 6
		.amdhsa_accum_offset 8
		.amdhsa_reserve_vcc 0
		.amdhsa_reserve_flat_scratch 0
		.amdhsa_float_round_mode_32 0
		.amdhsa_float_round_mode_16_64 0
		.amdhsa_float_denorm_mode_32 3
		.amdhsa_float_denorm_mode_16_64 3
		.amdhsa_dx10_clamp 1
		.amdhsa_ieee_mode 1
		.amdhsa_fp16_overflow 0
		.amdhsa_tg_split 0
		.amdhsa_exception_fp_ieee_invalid_op 0
		.amdhsa_exception_fp_denorm_src 0
		.amdhsa_exception_fp_ieee_div_zero 0
		.amdhsa_exception_fp_ieee_overflow 0
		.amdhsa_exception_fp_ieee_underflow 0
		.amdhsa_exception_fp_ieee_inexact 0
		.amdhsa_exception_int_div_zero 0
	.end_amdhsa_kernel
	.section	.text._Z20warp_exchange_kernelILj1024ELj5ELj32ELN6hipcub21WarpExchangeAlgorithmE0E18BlockedToStripedOpcEvPT4_S4_,"axG",@progbits,_Z20warp_exchange_kernelILj1024ELj5ELj32ELN6hipcub21WarpExchangeAlgorithmE0E18BlockedToStripedOpcEvPT4_S4_,comdat
.Lfunc_end119:
	.size	_Z20warp_exchange_kernelILj1024ELj5ELj32ELN6hipcub21WarpExchangeAlgorithmE0E18BlockedToStripedOpcEvPT4_S4_, .Lfunc_end119-_Z20warp_exchange_kernelILj1024ELj5ELj32ELN6hipcub21WarpExchangeAlgorithmE0E18BlockedToStripedOpcEvPT4_S4_
                                        ; -- End function
	.section	.AMDGPU.csdata,"",@progbits
; Kernel info:
; codeLenInByte = 216
; NumSgprs: 10
; NumVgprs: 7
; NumAgprs: 0
; TotalNumVgprs: 7
; ScratchSize: 0
; MemoryBound: 0
; FloatMode: 240
; IeeeMode: 1
; LDSByteSize: 5120 bytes/workgroup (compile time only)
; SGPRBlocks: 1
; VGPRBlocks: 0
; NumSGPRsForWavesPerEU: 10
; NumVGPRsForWavesPerEU: 7
; AccumOffset: 8
; Occupancy: 8
; WaveLimiterHint : 0
; COMPUTE_PGM_RSRC2:SCRATCH_EN: 0
; COMPUTE_PGM_RSRC2:USER_SGPR: 6
; COMPUTE_PGM_RSRC2:TRAP_HANDLER: 0
; COMPUTE_PGM_RSRC2:TGID_X_EN: 1
; COMPUTE_PGM_RSRC2:TGID_Y_EN: 0
; COMPUTE_PGM_RSRC2:TGID_Z_EN: 0
; COMPUTE_PGM_RSRC2:TIDIG_COMP_CNT: 0
; COMPUTE_PGM_RSRC3_GFX90A:ACCUM_OFFSET: 1
; COMPUTE_PGM_RSRC3_GFX90A:TG_SPLIT: 0
	.section	.text._Z20warp_exchange_kernelILj1024ELj4ELj32ELN6hipcub21WarpExchangeAlgorithmE0E18BlockedToStripedOpcEvPT4_S4_,"axG",@progbits,_Z20warp_exchange_kernelILj1024ELj4ELj32ELN6hipcub21WarpExchangeAlgorithmE0E18BlockedToStripedOpcEvPT4_S4_,comdat
	.protected	_Z20warp_exchange_kernelILj1024ELj4ELj32ELN6hipcub21WarpExchangeAlgorithmE0E18BlockedToStripedOpcEvPT4_S4_ ; -- Begin function _Z20warp_exchange_kernelILj1024ELj4ELj32ELN6hipcub21WarpExchangeAlgorithmE0E18BlockedToStripedOpcEvPT4_S4_
	.globl	_Z20warp_exchange_kernelILj1024ELj4ELj32ELN6hipcub21WarpExchangeAlgorithmE0E18BlockedToStripedOpcEvPT4_S4_
	.p2align	8
	.type	_Z20warp_exchange_kernelILj1024ELj4ELj32ELN6hipcub21WarpExchangeAlgorithmE0E18BlockedToStripedOpcEvPT4_S4_,@function
_Z20warp_exchange_kernelILj1024ELj4ELj32ELN6hipcub21WarpExchangeAlgorithmE0E18BlockedToStripedOpcEvPT4_S4_: ; @_Z20warp_exchange_kernelILj1024ELj4ELj32ELN6hipcub21WarpExchangeAlgorithmE0E18BlockedToStripedOpcEvPT4_S4_
; %bb.0:
	s_load_dwordx4 s[0:3], s[4:5], 0x0
	v_lshlrev_b32_e32 v0, 2, v0
	v_mbcnt_lo_u32_b32 v2, -1, 0
	v_mbcnt_hi_u32_b32 v2, -1, v2
	v_and_b32_e32 v3, 0xf80, v0
	s_waitcnt lgkmcnt(0)
	global_load_dword v1, v0, s[0:1]
	v_and_b32_e32 v2, 31, v2
	v_lshl_or_b32 v4, v2, 2, v3
	v_or_b32_e32 v2, v3, v2
	s_waitcnt vmcnt(0)
	ds_write_b32 v4, v1
	; wave barrier
	ds_read_u8 v1, v2 offset:32
	ds_read_u8 v3, v2 offset:96
	ds_read_u8 v4, v2
	ds_read_u8 v2, v2 offset:64
	s_waitcnt lgkmcnt(3)
	v_lshlrev_b16_e32 v1, 8, v1
	s_waitcnt lgkmcnt(2)
	v_lshlrev_b16_e32 v3, 8, v3
	s_waitcnt lgkmcnt(1)
	v_or_b32_e32 v1, v4, v1
	s_waitcnt lgkmcnt(0)
	v_or_b32_sdwa v2, v2, v3 dst_sel:WORD_1 dst_unused:UNUSED_PAD src0_sel:DWORD src1_sel:DWORD
	v_or_b32_sdwa v1, v1, v2 dst_sel:DWORD dst_unused:UNUSED_PAD src0_sel:WORD_0 src1_sel:DWORD
	global_store_dword v0, v1, s[2:3]
	s_endpgm
	.section	.rodata,"a",@progbits
	.p2align	6, 0x0
	.amdhsa_kernel _Z20warp_exchange_kernelILj1024ELj4ELj32ELN6hipcub21WarpExchangeAlgorithmE0E18BlockedToStripedOpcEvPT4_S4_
		.amdhsa_group_segment_fixed_size 4096
		.amdhsa_private_segment_fixed_size 0
		.amdhsa_kernarg_size 16
		.amdhsa_user_sgpr_count 6
		.amdhsa_user_sgpr_private_segment_buffer 1
		.amdhsa_user_sgpr_dispatch_ptr 0
		.amdhsa_user_sgpr_queue_ptr 0
		.amdhsa_user_sgpr_kernarg_segment_ptr 1
		.amdhsa_user_sgpr_dispatch_id 0
		.amdhsa_user_sgpr_flat_scratch_init 0
		.amdhsa_user_sgpr_kernarg_preload_length 0
		.amdhsa_user_sgpr_kernarg_preload_offset 0
		.amdhsa_user_sgpr_private_segment_size 0
		.amdhsa_uses_dynamic_stack 0
		.amdhsa_system_sgpr_private_segment_wavefront_offset 0
		.amdhsa_system_sgpr_workgroup_id_x 1
		.amdhsa_system_sgpr_workgroup_id_y 0
		.amdhsa_system_sgpr_workgroup_id_z 0
		.amdhsa_system_sgpr_workgroup_info 0
		.amdhsa_system_vgpr_workitem_id 0
		.amdhsa_next_free_vgpr 5
		.amdhsa_next_free_sgpr 6
		.amdhsa_accum_offset 8
		.amdhsa_reserve_vcc 0
		.amdhsa_reserve_flat_scratch 0
		.amdhsa_float_round_mode_32 0
		.amdhsa_float_round_mode_16_64 0
		.amdhsa_float_denorm_mode_32 3
		.amdhsa_float_denorm_mode_16_64 3
		.amdhsa_dx10_clamp 1
		.amdhsa_ieee_mode 1
		.amdhsa_fp16_overflow 0
		.amdhsa_tg_split 0
		.amdhsa_exception_fp_ieee_invalid_op 0
		.amdhsa_exception_fp_denorm_src 0
		.amdhsa_exception_fp_ieee_div_zero 0
		.amdhsa_exception_fp_ieee_overflow 0
		.amdhsa_exception_fp_ieee_underflow 0
		.amdhsa_exception_fp_ieee_inexact 0
		.amdhsa_exception_int_div_zero 0
	.end_amdhsa_kernel
	.section	.text._Z20warp_exchange_kernelILj1024ELj4ELj32ELN6hipcub21WarpExchangeAlgorithmE0E18BlockedToStripedOpcEvPT4_S4_,"axG",@progbits,_Z20warp_exchange_kernelILj1024ELj4ELj32ELN6hipcub21WarpExchangeAlgorithmE0E18BlockedToStripedOpcEvPT4_S4_,comdat
.Lfunc_end120:
	.size	_Z20warp_exchange_kernelILj1024ELj4ELj32ELN6hipcub21WarpExchangeAlgorithmE0E18BlockedToStripedOpcEvPT4_S4_, .Lfunc_end120-_Z20warp_exchange_kernelILj1024ELj4ELj32ELN6hipcub21WarpExchangeAlgorithmE0E18BlockedToStripedOpcEvPT4_S4_
                                        ; -- End function
	.section	.AMDGPU.csdata,"",@progbits
; Kernel info:
; codeLenInByte = 164
; NumSgprs: 10
; NumVgprs: 5
; NumAgprs: 0
; TotalNumVgprs: 5
; ScratchSize: 0
; MemoryBound: 0
; FloatMode: 240
; IeeeMode: 1
; LDSByteSize: 4096 bytes/workgroup (compile time only)
; SGPRBlocks: 1
; VGPRBlocks: 0
; NumSGPRsForWavesPerEU: 10
; NumVGPRsForWavesPerEU: 5
; AccumOffset: 8
; Occupancy: 8
; WaveLimiterHint : 0
; COMPUTE_PGM_RSRC2:SCRATCH_EN: 0
; COMPUTE_PGM_RSRC2:USER_SGPR: 6
; COMPUTE_PGM_RSRC2:TRAP_HANDLER: 0
; COMPUTE_PGM_RSRC2:TGID_X_EN: 1
; COMPUTE_PGM_RSRC2:TGID_Y_EN: 0
; COMPUTE_PGM_RSRC2:TGID_Z_EN: 0
; COMPUTE_PGM_RSRC2:TIDIG_COMP_CNT: 0
; COMPUTE_PGM_RSRC3_GFX90A:ACCUM_OFFSET: 1
; COMPUTE_PGM_RSRC3_GFX90A:TG_SPLIT: 0
	.section	.text._Z20warp_exchange_kernelILj1024ELj1ELj32ELN6hipcub21WarpExchangeAlgorithmE0E18BlockedToStripedOpcEvPT4_S4_,"axG",@progbits,_Z20warp_exchange_kernelILj1024ELj1ELj32ELN6hipcub21WarpExchangeAlgorithmE0E18BlockedToStripedOpcEvPT4_S4_,comdat
	.protected	_Z20warp_exchange_kernelILj1024ELj1ELj32ELN6hipcub21WarpExchangeAlgorithmE0E18BlockedToStripedOpcEvPT4_S4_ ; -- Begin function _Z20warp_exchange_kernelILj1024ELj1ELj32ELN6hipcub21WarpExchangeAlgorithmE0E18BlockedToStripedOpcEvPT4_S4_
	.globl	_Z20warp_exchange_kernelILj1024ELj1ELj32ELN6hipcub21WarpExchangeAlgorithmE0E18BlockedToStripedOpcEvPT4_S4_
	.p2align	8
	.type	_Z20warp_exchange_kernelILj1024ELj1ELj32ELN6hipcub21WarpExchangeAlgorithmE0E18BlockedToStripedOpcEvPT4_S4_,@function
_Z20warp_exchange_kernelILj1024ELj1ELj32ELN6hipcub21WarpExchangeAlgorithmE0E18BlockedToStripedOpcEvPT4_S4_: ; @_Z20warp_exchange_kernelILj1024ELj1ELj32ELN6hipcub21WarpExchangeAlgorithmE0E18BlockedToStripedOpcEvPT4_S4_
; %bb.0:
	s_load_dwordx4 s[0:3], s[4:5], 0x0
	v_mbcnt_lo_u32_b32 v2, -1, 0
	v_mbcnt_hi_u32_b32 v2, -1, v2
	v_and_b32_e32 v2, 31, v2
	s_waitcnt lgkmcnt(0)
	global_load_ubyte v1, v0, s[0:1]
	s_movk_i32 s0, 0x3e0
	v_and_or_b32 v2, v0, s0, v2
	s_waitcnt vmcnt(0)
	ds_write_b8 v2, v1
	; wave barrier
	ds_read_u8 v1, v2
	s_waitcnt lgkmcnt(0)
	global_store_byte v0, v1, s[2:3]
	s_endpgm
	.section	.rodata,"a",@progbits
	.p2align	6, 0x0
	.amdhsa_kernel _Z20warp_exchange_kernelILj1024ELj1ELj32ELN6hipcub21WarpExchangeAlgorithmE0E18BlockedToStripedOpcEvPT4_S4_
		.amdhsa_group_segment_fixed_size 1024
		.amdhsa_private_segment_fixed_size 0
		.amdhsa_kernarg_size 16
		.amdhsa_user_sgpr_count 6
		.amdhsa_user_sgpr_private_segment_buffer 1
		.amdhsa_user_sgpr_dispatch_ptr 0
		.amdhsa_user_sgpr_queue_ptr 0
		.amdhsa_user_sgpr_kernarg_segment_ptr 1
		.amdhsa_user_sgpr_dispatch_id 0
		.amdhsa_user_sgpr_flat_scratch_init 0
		.amdhsa_user_sgpr_kernarg_preload_length 0
		.amdhsa_user_sgpr_kernarg_preload_offset 0
		.amdhsa_user_sgpr_private_segment_size 0
		.amdhsa_uses_dynamic_stack 0
		.amdhsa_system_sgpr_private_segment_wavefront_offset 0
		.amdhsa_system_sgpr_workgroup_id_x 1
		.amdhsa_system_sgpr_workgroup_id_y 0
		.amdhsa_system_sgpr_workgroup_id_z 0
		.amdhsa_system_sgpr_workgroup_info 0
		.amdhsa_system_vgpr_workitem_id 0
		.amdhsa_next_free_vgpr 3
		.amdhsa_next_free_sgpr 6
		.amdhsa_accum_offset 4
		.amdhsa_reserve_vcc 0
		.amdhsa_reserve_flat_scratch 0
		.amdhsa_float_round_mode_32 0
		.amdhsa_float_round_mode_16_64 0
		.amdhsa_float_denorm_mode_32 3
		.amdhsa_float_denorm_mode_16_64 3
		.amdhsa_dx10_clamp 1
		.amdhsa_ieee_mode 1
		.amdhsa_fp16_overflow 0
		.amdhsa_tg_split 0
		.amdhsa_exception_fp_ieee_invalid_op 0
		.amdhsa_exception_fp_denorm_src 0
		.amdhsa_exception_fp_ieee_div_zero 0
		.amdhsa_exception_fp_ieee_overflow 0
		.amdhsa_exception_fp_ieee_underflow 0
		.amdhsa_exception_fp_ieee_inexact 0
		.amdhsa_exception_int_div_zero 0
	.end_amdhsa_kernel
	.section	.text._Z20warp_exchange_kernelILj1024ELj1ELj32ELN6hipcub21WarpExchangeAlgorithmE0E18BlockedToStripedOpcEvPT4_S4_,"axG",@progbits,_Z20warp_exchange_kernelILj1024ELj1ELj32ELN6hipcub21WarpExchangeAlgorithmE0E18BlockedToStripedOpcEvPT4_S4_,comdat
.Lfunc_end121:
	.size	_Z20warp_exchange_kernelILj1024ELj1ELj32ELN6hipcub21WarpExchangeAlgorithmE0E18BlockedToStripedOpcEvPT4_S4_, .Lfunc_end121-_Z20warp_exchange_kernelILj1024ELj1ELj32ELN6hipcub21WarpExchangeAlgorithmE0E18BlockedToStripedOpcEvPT4_S4_
                                        ; -- End function
	.section	.AMDGPU.csdata,"",@progbits
; Kernel info:
; codeLenInByte = 88
; NumSgprs: 10
; NumVgprs: 3
; NumAgprs: 0
; TotalNumVgprs: 3
; ScratchSize: 0
; MemoryBound: 0
; FloatMode: 240
; IeeeMode: 1
; LDSByteSize: 1024 bytes/workgroup (compile time only)
; SGPRBlocks: 1
; VGPRBlocks: 0
; NumSGPRsForWavesPerEU: 10
; NumVGPRsForWavesPerEU: 3
; AccumOffset: 4
; Occupancy: 8
; WaveLimiterHint : 0
; COMPUTE_PGM_RSRC2:SCRATCH_EN: 0
; COMPUTE_PGM_RSRC2:USER_SGPR: 6
; COMPUTE_PGM_RSRC2:TRAP_HANDLER: 0
; COMPUTE_PGM_RSRC2:TGID_X_EN: 1
; COMPUTE_PGM_RSRC2:TGID_Y_EN: 0
; COMPUTE_PGM_RSRC2:TGID_Z_EN: 0
; COMPUTE_PGM_RSRC2:TIDIG_COMP_CNT: 0
; COMPUTE_PGM_RSRC3_GFX90A:ACCUM_OFFSET: 0
; COMPUTE_PGM_RSRC3_GFX90A:TG_SPLIT: 0
	.section	.text._Z20warp_exchange_kernelILj1024ELj5ELj16ELN6hipcub21WarpExchangeAlgorithmE0E18BlockedToStripedOpcEvPT4_S4_,"axG",@progbits,_Z20warp_exchange_kernelILj1024ELj5ELj16ELN6hipcub21WarpExchangeAlgorithmE0E18BlockedToStripedOpcEvPT4_S4_,comdat
	.protected	_Z20warp_exchange_kernelILj1024ELj5ELj16ELN6hipcub21WarpExchangeAlgorithmE0E18BlockedToStripedOpcEvPT4_S4_ ; -- Begin function _Z20warp_exchange_kernelILj1024ELj5ELj16ELN6hipcub21WarpExchangeAlgorithmE0E18BlockedToStripedOpcEvPT4_S4_
	.globl	_Z20warp_exchange_kernelILj1024ELj5ELj16ELN6hipcub21WarpExchangeAlgorithmE0E18BlockedToStripedOpcEvPT4_S4_
	.p2align	8
	.type	_Z20warp_exchange_kernelILj1024ELj5ELj16ELN6hipcub21WarpExchangeAlgorithmE0E18BlockedToStripedOpcEvPT4_S4_,@function
_Z20warp_exchange_kernelILj1024ELj5ELj16ELN6hipcub21WarpExchangeAlgorithmE0E18BlockedToStripedOpcEvPT4_S4_: ; @_Z20warp_exchange_kernelILj1024ELj5ELj16ELN6hipcub21WarpExchangeAlgorithmE0E18BlockedToStripedOpcEvPT4_S4_
; %bb.0:
	s_load_dwordx4 s[0:3], s[4:5], 0x0
	v_mul_u32_u24_e32 v1, 5, v0
	v_mbcnt_lo_u32_b32 v4, -1, 0
	v_mbcnt_hi_u32_b32 v4, -1, v4
	v_lshrrev_b32_e32 v0, 4, v0
	s_waitcnt lgkmcnt(0)
	global_load_dword v2, v1, s[0:1]
	global_load_sbyte v3, v1, s[0:1] offset:4
	v_and_b32_e32 v4, 15, v4
	s_movk_i32 s0, 0x50
	v_mul_u32_u24_e32 v5, 0x50, v0
	v_mul_u32_u24_e32 v6, 5, v4
	v_or_b32_e32 v4, v5, v4
	v_mad_u32_u24 v0, v0, s0, v6
	s_waitcnt vmcnt(1)
	ds_write_b32 v0, v2
	s_waitcnt vmcnt(0)
	ds_write_b8 v0, v3 offset:4
	; wave barrier
	ds_read_u8 v0, v4 offset:16
	ds_read_u8 v2, v4 offset:48
	ds_read_u8 v3, v4
	ds_read_u8 v5, v4 offset:32
	ds_read_u8 v4, v4 offset:64
	s_waitcnt lgkmcnt(4)
	v_lshlrev_b16_e32 v0, 8, v0
	s_waitcnt lgkmcnt(3)
	v_lshlrev_b16_e32 v2, 8, v2
	s_waitcnt lgkmcnt(2)
	v_or_b32_e32 v0, v3, v0
	s_waitcnt lgkmcnt(1)
	v_or_b32_sdwa v2, v5, v2 dst_sel:WORD_1 dst_unused:UNUSED_PAD src0_sel:DWORD src1_sel:DWORD
	v_or_b32_sdwa v0, v0, v2 dst_sel:DWORD dst_unused:UNUSED_PAD src0_sel:WORD_0 src1_sel:DWORD
	s_waitcnt lgkmcnt(0)
	global_store_byte v1, v4, s[2:3] offset:4
	global_store_dword v1, v0, s[2:3]
	s_endpgm
	.section	.rodata,"a",@progbits
	.p2align	6, 0x0
	.amdhsa_kernel _Z20warp_exchange_kernelILj1024ELj5ELj16ELN6hipcub21WarpExchangeAlgorithmE0E18BlockedToStripedOpcEvPT4_S4_
		.amdhsa_group_segment_fixed_size 5120
		.amdhsa_private_segment_fixed_size 0
		.amdhsa_kernarg_size 16
		.amdhsa_user_sgpr_count 6
		.amdhsa_user_sgpr_private_segment_buffer 1
		.amdhsa_user_sgpr_dispatch_ptr 0
		.amdhsa_user_sgpr_queue_ptr 0
		.amdhsa_user_sgpr_kernarg_segment_ptr 1
		.amdhsa_user_sgpr_dispatch_id 0
		.amdhsa_user_sgpr_flat_scratch_init 0
		.amdhsa_user_sgpr_kernarg_preload_length 0
		.amdhsa_user_sgpr_kernarg_preload_offset 0
		.amdhsa_user_sgpr_private_segment_size 0
		.amdhsa_uses_dynamic_stack 0
		.amdhsa_system_sgpr_private_segment_wavefront_offset 0
		.amdhsa_system_sgpr_workgroup_id_x 1
		.amdhsa_system_sgpr_workgroup_id_y 0
		.amdhsa_system_sgpr_workgroup_id_z 0
		.amdhsa_system_sgpr_workgroup_info 0
		.amdhsa_system_vgpr_workitem_id 0
		.amdhsa_next_free_vgpr 7
		.amdhsa_next_free_sgpr 6
		.amdhsa_accum_offset 8
		.amdhsa_reserve_vcc 0
		.amdhsa_reserve_flat_scratch 0
		.amdhsa_float_round_mode_32 0
		.amdhsa_float_round_mode_16_64 0
		.amdhsa_float_denorm_mode_32 3
		.amdhsa_float_denorm_mode_16_64 3
		.amdhsa_dx10_clamp 1
		.amdhsa_ieee_mode 1
		.amdhsa_fp16_overflow 0
		.amdhsa_tg_split 0
		.amdhsa_exception_fp_ieee_invalid_op 0
		.amdhsa_exception_fp_denorm_src 0
		.amdhsa_exception_fp_ieee_div_zero 0
		.amdhsa_exception_fp_ieee_overflow 0
		.amdhsa_exception_fp_ieee_underflow 0
		.amdhsa_exception_fp_ieee_inexact 0
		.amdhsa_exception_int_div_zero 0
	.end_amdhsa_kernel
	.section	.text._Z20warp_exchange_kernelILj1024ELj5ELj16ELN6hipcub21WarpExchangeAlgorithmE0E18BlockedToStripedOpcEvPT4_S4_,"axG",@progbits,_Z20warp_exchange_kernelILj1024ELj5ELj16ELN6hipcub21WarpExchangeAlgorithmE0E18BlockedToStripedOpcEvPT4_S4_,comdat
.Lfunc_end122:
	.size	_Z20warp_exchange_kernelILj1024ELj5ELj16ELN6hipcub21WarpExchangeAlgorithmE0E18BlockedToStripedOpcEvPT4_S4_, .Lfunc_end122-_Z20warp_exchange_kernelILj1024ELj5ELj16ELN6hipcub21WarpExchangeAlgorithmE0E18BlockedToStripedOpcEvPT4_S4_
                                        ; -- End function
	.section	.AMDGPU.csdata,"",@progbits
; Kernel info:
; codeLenInByte = 216
; NumSgprs: 10
; NumVgprs: 7
; NumAgprs: 0
; TotalNumVgprs: 7
; ScratchSize: 0
; MemoryBound: 0
; FloatMode: 240
; IeeeMode: 1
; LDSByteSize: 5120 bytes/workgroup (compile time only)
; SGPRBlocks: 1
; VGPRBlocks: 0
; NumSGPRsForWavesPerEU: 10
; NumVGPRsForWavesPerEU: 7
; AccumOffset: 8
; Occupancy: 8
; WaveLimiterHint : 0
; COMPUTE_PGM_RSRC2:SCRATCH_EN: 0
; COMPUTE_PGM_RSRC2:USER_SGPR: 6
; COMPUTE_PGM_RSRC2:TRAP_HANDLER: 0
; COMPUTE_PGM_RSRC2:TGID_X_EN: 1
; COMPUTE_PGM_RSRC2:TGID_Y_EN: 0
; COMPUTE_PGM_RSRC2:TGID_Z_EN: 0
; COMPUTE_PGM_RSRC2:TIDIG_COMP_CNT: 0
; COMPUTE_PGM_RSRC3_GFX90A:ACCUM_OFFSET: 1
; COMPUTE_PGM_RSRC3_GFX90A:TG_SPLIT: 0
	.section	.text._Z20warp_exchange_kernelILj1024ELj4ELj16ELN6hipcub21WarpExchangeAlgorithmE0E18BlockedToStripedOpcEvPT4_S4_,"axG",@progbits,_Z20warp_exchange_kernelILj1024ELj4ELj16ELN6hipcub21WarpExchangeAlgorithmE0E18BlockedToStripedOpcEvPT4_S4_,comdat
	.protected	_Z20warp_exchange_kernelILj1024ELj4ELj16ELN6hipcub21WarpExchangeAlgorithmE0E18BlockedToStripedOpcEvPT4_S4_ ; -- Begin function _Z20warp_exchange_kernelILj1024ELj4ELj16ELN6hipcub21WarpExchangeAlgorithmE0E18BlockedToStripedOpcEvPT4_S4_
	.globl	_Z20warp_exchange_kernelILj1024ELj4ELj16ELN6hipcub21WarpExchangeAlgorithmE0E18BlockedToStripedOpcEvPT4_S4_
	.p2align	8
	.type	_Z20warp_exchange_kernelILj1024ELj4ELj16ELN6hipcub21WarpExchangeAlgorithmE0E18BlockedToStripedOpcEvPT4_S4_,@function
_Z20warp_exchange_kernelILj1024ELj4ELj16ELN6hipcub21WarpExchangeAlgorithmE0E18BlockedToStripedOpcEvPT4_S4_: ; @_Z20warp_exchange_kernelILj1024ELj4ELj16ELN6hipcub21WarpExchangeAlgorithmE0E18BlockedToStripedOpcEvPT4_S4_
; %bb.0:
	s_load_dwordx4 s[0:3], s[4:5], 0x0
	v_lshlrev_b32_e32 v0, 2, v0
	v_mbcnt_lo_u32_b32 v2, -1, 0
	v_mbcnt_hi_u32_b32 v2, -1, v2
	v_and_b32_e32 v3, 0xfc0, v0
	s_waitcnt lgkmcnt(0)
	global_load_dword v1, v0, s[0:1]
	v_and_b32_e32 v2, 15, v2
	v_lshl_or_b32 v4, v2, 2, v3
	v_or_b32_e32 v2, v3, v2
	s_waitcnt vmcnt(0)
	ds_write_b32 v4, v1
	; wave barrier
	ds_read_u8 v1, v2 offset:16
	ds_read_u8 v3, v2 offset:48
	ds_read_u8 v4, v2
	ds_read_u8 v2, v2 offset:32
	s_waitcnt lgkmcnt(3)
	v_lshlrev_b16_e32 v1, 8, v1
	s_waitcnt lgkmcnt(2)
	v_lshlrev_b16_e32 v3, 8, v3
	s_waitcnt lgkmcnt(1)
	v_or_b32_e32 v1, v4, v1
	s_waitcnt lgkmcnt(0)
	v_or_b32_sdwa v2, v2, v3 dst_sel:WORD_1 dst_unused:UNUSED_PAD src0_sel:DWORD src1_sel:DWORD
	v_or_b32_sdwa v1, v1, v2 dst_sel:DWORD dst_unused:UNUSED_PAD src0_sel:WORD_0 src1_sel:DWORD
	global_store_dword v0, v1, s[2:3]
	s_endpgm
	.section	.rodata,"a",@progbits
	.p2align	6, 0x0
	.amdhsa_kernel _Z20warp_exchange_kernelILj1024ELj4ELj16ELN6hipcub21WarpExchangeAlgorithmE0E18BlockedToStripedOpcEvPT4_S4_
		.amdhsa_group_segment_fixed_size 4096
		.amdhsa_private_segment_fixed_size 0
		.amdhsa_kernarg_size 16
		.amdhsa_user_sgpr_count 6
		.amdhsa_user_sgpr_private_segment_buffer 1
		.amdhsa_user_sgpr_dispatch_ptr 0
		.amdhsa_user_sgpr_queue_ptr 0
		.amdhsa_user_sgpr_kernarg_segment_ptr 1
		.amdhsa_user_sgpr_dispatch_id 0
		.amdhsa_user_sgpr_flat_scratch_init 0
		.amdhsa_user_sgpr_kernarg_preload_length 0
		.amdhsa_user_sgpr_kernarg_preload_offset 0
		.amdhsa_user_sgpr_private_segment_size 0
		.amdhsa_uses_dynamic_stack 0
		.amdhsa_system_sgpr_private_segment_wavefront_offset 0
		.amdhsa_system_sgpr_workgroup_id_x 1
		.amdhsa_system_sgpr_workgroup_id_y 0
		.amdhsa_system_sgpr_workgroup_id_z 0
		.amdhsa_system_sgpr_workgroup_info 0
		.amdhsa_system_vgpr_workitem_id 0
		.amdhsa_next_free_vgpr 5
		.amdhsa_next_free_sgpr 6
		.amdhsa_accum_offset 8
		.amdhsa_reserve_vcc 0
		.amdhsa_reserve_flat_scratch 0
		.amdhsa_float_round_mode_32 0
		.amdhsa_float_round_mode_16_64 0
		.amdhsa_float_denorm_mode_32 3
		.amdhsa_float_denorm_mode_16_64 3
		.amdhsa_dx10_clamp 1
		.amdhsa_ieee_mode 1
		.amdhsa_fp16_overflow 0
		.amdhsa_tg_split 0
		.amdhsa_exception_fp_ieee_invalid_op 0
		.amdhsa_exception_fp_denorm_src 0
		.amdhsa_exception_fp_ieee_div_zero 0
		.amdhsa_exception_fp_ieee_overflow 0
		.amdhsa_exception_fp_ieee_underflow 0
		.amdhsa_exception_fp_ieee_inexact 0
		.amdhsa_exception_int_div_zero 0
	.end_amdhsa_kernel
	.section	.text._Z20warp_exchange_kernelILj1024ELj4ELj16ELN6hipcub21WarpExchangeAlgorithmE0E18BlockedToStripedOpcEvPT4_S4_,"axG",@progbits,_Z20warp_exchange_kernelILj1024ELj4ELj16ELN6hipcub21WarpExchangeAlgorithmE0E18BlockedToStripedOpcEvPT4_S4_,comdat
.Lfunc_end123:
	.size	_Z20warp_exchange_kernelILj1024ELj4ELj16ELN6hipcub21WarpExchangeAlgorithmE0E18BlockedToStripedOpcEvPT4_S4_, .Lfunc_end123-_Z20warp_exchange_kernelILj1024ELj4ELj16ELN6hipcub21WarpExchangeAlgorithmE0E18BlockedToStripedOpcEvPT4_S4_
                                        ; -- End function
	.section	.AMDGPU.csdata,"",@progbits
; Kernel info:
; codeLenInByte = 164
; NumSgprs: 10
; NumVgprs: 5
; NumAgprs: 0
; TotalNumVgprs: 5
; ScratchSize: 0
; MemoryBound: 0
; FloatMode: 240
; IeeeMode: 1
; LDSByteSize: 4096 bytes/workgroup (compile time only)
; SGPRBlocks: 1
; VGPRBlocks: 0
; NumSGPRsForWavesPerEU: 10
; NumVGPRsForWavesPerEU: 5
; AccumOffset: 8
; Occupancy: 8
; WaveLimiterHint : 0
; COMPUTE_PGM_RSRC2:SCRATCH_EN: 0
; COMPUTE_PGM_RSRC2:USER_SGPR: 6
; COMPUTE_PGM_RSRC2:TRAP_HANDLER: 0
; COMPUTE_PGM_RSRC2:TGID_X_EN: 1
; COMPUTE_PGM_RSRC2:TGID_Y_EN: 0
; COMPUTE_PGM_RSRC2:TGID_Z_EN: 0
; COMPUTE_PGM_RSRC2:TIDIG_COMP_CNT: 0
; COMPUTE_PGM_RSRC3_GFX90A:ACCUM_OFFSET: 1
; COMPUTE_PGM_RSRC3_GFX90A:TG_SPLIT: 0
	.section	.text._Z20warp_exchange_kernelILj1024ELj1ELj16ELN6hipcub21WarpExchangeAlgorithmE0E18BlockedToStripedOpcEvPT4_S4_,"axG",@progbits,_Z20warp_exchange_kernelILj1024ELj1ELj16ELN6hipcub21WarpExchangeAlgorithmE0E18BlockedToStripedOpcEvPT4_S4_,comdat
	.protected	_Z20warp_exchange_kernelILj1024ELj1ELj16ELN6hipcub21WarpExchangeAlgorithmE0E18BlockedToStripedOpcEvPT4_S4_ ; -- Begin function _Z20warp_exchange_kernelILj1024ELj1ELj16ELN6hipcub21WarpExchangeAlgorithmE0E18BlockedToStripedOpcEvPT4_S4_
	.globl	_Z20warp_exchange_kernelILj1024ELj1ELj16ELN6hipcub21WarpExchangeAlgorithmE0E18BlockedToStripedOpcEvPT4_S4_
	.p2align	8
	.type	_Z20warp_exchange_kernelILj1024ELj1ELj16ELN6hipcub21WarpExchangeAlgorithmE0E18BlockedToStripedOpcEvPT4_S4_,@function
_Z20warp_exchange_kernelILj1024ELj1ELj16ELN6hipcub21WarpExchangeAlgorithmE0E18BlockedToStripedOpcEvPT4_S4_: ; @_Z20warp_exchange_kernelILj1024ELj1ELj16ELN6hipcub21WarpExchangeAlgorithmE0E18BlockedToStripedOpcEvPT4_S4_
; %bb.0:
	s_load_dwordx4 s[0:3], s[4:5], 0x0
	v_mbcnt_lo_u32_b32 v2, -1, 0
	v_mbcnt_hi_u32_b32 v2, -1, v2
	v_and_b32_e32 v2, 15, v2
	s_waitcnt lgkmcnt(0)
	global_load_ubyte v1, v0, s[0:1]
	s_movk_i32 s0, 0x3f0
	v_and_or_b32 v2, v0, s0, v2
	s_waitcnt vmcnt(0)
	ds_write_b8 v2, v1
	; wave barrier
	ds_read_u8 v1, v2
	s_waitcnt lgkmcnt(0)
	global_store_byte v0, v1, s[2:3]
	s_endpgm
	.section	.rodata,"a",@progbits
	.p2align	6, 0x0
	.amdhsa_kernel _Z20warp_exchange_kernelILj1024ELj1ELj16ELN6hipcub21WarpExchangeAlgorithmE0E18BlockedToStripedOpcEvPT4_S4_
		.amdhsa_group_segment_fixed_size 1024
		.amdhsa_private_segment_fixed_size 0
		.amdhsa_kernarg_size 16
		.amdhsa_user_sgpr_count 6
		.amdhsa_user_sgpr_private_segment_buffer 1
		.amdhsa_user_sgpr_dispatch_ptr 0
		.amdhsa_user_sgpr_queue_ptr 0
		.amdhsa_user_sgpr_kernarg_segment_ptr 1
		.amdhsa_user_sgpr_dispatch_id 0
		.amdhsa_user_sgpr_flat_scratch_init 0
		.amdhsa_user_sgpr_kernarg_preload_length 0
		.amdhsa_user_sgpr_kernarg_preload_offset 0
		.amdhsa_user_sgpr_private_segment_size 0
		.amdhsa_uses_dynamic_stack 0
		.amdhsa_system_sgpr_private_segment_wavefront_offset 0
		.amdhsa_system_sgpr_workgroup_id_x 1
		.amdhsa_system_sgpr_workgroup_id_y 0
		.amdhsa_system_sgpr_workgroup_id_z 0
		.amdhsa_system_sgpr_workgroup_info 0
		.amdhsa_system_vgpr_workitem_id 0
		.amdhsa_next_free_vgpr 3
		.amdhsa_next_free_sgpr 6
		.amdhsa_accum_offset 4
		.amdhsa_reserve_vcc 0
		.amdhsa_reserve_flat_scratch 0
		.amdhsa_float_round_mode_32 0
		.amdhsa_float_round_mode_16_64 0
		.amdhsa_float_denorm_mode_32 3
		.amdhsa_float_denorm_mode_16_64 3
		.amdhsa_dx10_clamp 1
		.amdhsa_ieee_mode 1
		.amdhsa_fp16_overflow 0
		.amdhsa_tg_split 0
		.amdhsa_exception_fp_ieee_invalid_op 0
		.amdhsa_exception_fp_denorm_src 0
		.amdhsa_exception_fp_ieee_div_zero 0
		.amdhsa_exception_fp_ieee_overflow 0
		.amdhsa_exception_fp_ieee_underflow 0
		.amdhsa_exception_fp_ieee_inexact 0
		.amdhsa_exception_int_div_zero 0
	.end_amdhsa_kernel
	.section	.text._Z20warp_exchange_kernelILj1024ELj1ELj16ELN6hipcub21WarpExchangeAlgorithmE0E18BlockedToStripedOpcEvPT4_S4_,"axG",@progbits,_Z20warp_exchange_kernelILj1024ELj1ELj16ELN6hipcub21WarpExchangeAlgorithmE0E18BlockedToStripedOpcEvPT4_S4_,comdat
.Lfunc_end124:
	.size	_Z20warp_exchange_kernelILj1024ELj1ELj16ELN6hipcub21WarpExchangeAlgorithmE0E18BlockedToStripedOpcEvPT4_S4_, .Lfunc_end124-_Z20warp_exchange_kernelILj1024ELj1ELj16ELN6hipcub21WarpExchangeAlgorithmE0E18BlockedToStripedOpcEvPT4_S4_
                                        ; -- End function
	.section	.AMDGPU.csdata,"",@progbits
; Kernel info:
; codeLenInByte = 88
; NumSgprs: 10
; NumVgprs: 3
; NumAgprs: 0
; TotalNumVgprs: 3
; ScratchSize: 0
; MemoryBound: 0
; FloatMode: 240
; IeeeMode: 1
; LDSByteSize: 1024 bytes/workgroup (compile time only)
; SGPRBlocks: 1
; VGPRBlocks: 0
; NumSGPRsForWavesPerEU: 10
; NumVGPRsForWavesPerEU: 3
; AccumOffset: 4
; Occupancy: 8
; WaveLimiterHint : 0
; COMPUTE_PGM_RSRC2:SCRATCH_EN: 0
; COMPUTE_PGM_RSRC2:USER_SGPR: 6
; COMPUTE_PGM_RSRC2:TRAP_HANDLER: 0
; COMPUTE_PGM_RSRC2:TGID_X_EN: 1
; COMPUTE_PGM_RSRC2:TGID_Y_EN: 0
; COMPUTE_PGM_RSRC2:TGID_Z_EN: 0
; COMPUTE_PGM_RSRC2:TIDIG_COMP_CNT: 0
; COMPUTE_PGM_RSRC3_GFX90A:ACCUM_OFFSET: 0
; COMPUTE_PGM_RSRC3_GFX90A:TG_SPLIT: 0
	.section	.text._Z20warp_exchange_kernelILj1024ELj5ELj8ELN6hipcub21WarpExchangeAlgorithmE0E18BlockedToStripedOpcEvPT4_S4_,"axG",@progbits,_Z20warp_exchange_kernelILj1024ELj5ELj8ELN6hipcub21WarpExchangeAlgorithmE0E18BlockedToStripedOpcEvPT4_S4_,comdat
	.protected	_Z20warp_exchange_kernelILj1024ELj5ELj8ELN6hipcub21WarpExchangeAlgorithmE0E18BlockedToStripedOpcEvPT4_S4_ ; -- Begin function _Z20warp_exchange_kernelILj1024ELj5ELj8ELN6hipcub21WarpExchangeAlgorithmE0E18BlockedToStripedOpcEvPT4_S4_
	.globl	_Z20warp_exchange_kernelILj1024ELj5ELj8ELN6hipcub21WarpExchangeAlgorithmE0E18BlockedToStripedOpcEvPT4_S4_
	.p2align	8
	.type	_Z20warp_exchange_kernelILj1024ELj5ELj8ELN6hipcub21WarpExchangeAlgorithmE0E18BlockedToStripedOpcEvPT4_S4_,@function
_Z20warp_exchange_kernelILj1024ELj5ELj8ELN6hipcub21WarpExchangeAlgorithmE0E18BlockedToStripedOpcEvPT4_S4_: ; @_Z20warp_exchange_kernelILj1024ELj5ELj8ELN6hipcub21WarpExchangeAlgorithmE0E18BlockedToStripedOpcEvPT4_S4_
; %bb.0:
	s_load_dwordx4 s[0:3], s[4:5], 0x0
	v_mul_u32_u24_e32 v1, 5, v0
	v_mbcnt_lo_u32_b32 v4, -1, 0
	v_mbcnt_hi_u32_b32 v4, -1, v4
	v_lshrrev_b32_e32 v0, 3, v0
	s_waitcnt lgkmcnt(0)
	global_load_dword v2, v1, s[0:1]
	global_load_sbyte v3, v1, s[0:1] offset:4
	v_and_b32_e32 v4, 7, v4
	v_mul_u32_u24_e32 v5, 40, v0
	v_mul_u32_u24_e32 v6, 5, v4
	v_or_b32_e32 v4, v5, v4
	v_mad_u32_u24 v0, v0, 40, v6
	s_waitcnt vmcnt(1)
	ds_write_b32 v0, v2
	s_waitcnt vmcnt(0)
	ds_write_b8 v0, v3 offset:4
	; wave barrier
	ds_read_u8 v0, v4 offset:8
	ds_read_u8 v2, v4 offset:24
	ds_read_u8 v3, v4
	ds_read_u8 v5, v4 offset:16
	ds_read_u8 v4, v4 offset:32
	s_waitcnt lgkmcnt(4)
	v_lshlrev_b16_e32 v0, 8, v0
	s_waitcnt lgkmcnt(3)
	v_lshlrev_b16_e32 v2, 8, v2
	s_waitcnt lgkmcnt(2)
	v_or_b32_e32 v0, v3, v0
	s_waitcnt lgkmcnt(1)
	v_or_b32_sdwa v2, v5, v2 dst_sel:WORD_1 dst_unused:UNUSED_PAD src0_sel:DWORD src1_sel:DWORD
	v_or_b32_sdwa v0, v0, v2 dst_sel:DWORD dst_unused:UNUSED_PAD src0_sel:WORD_0 src1_sel:DWORD
	s_waitcnt lgkmcnt(0)
	global_store_byte v1, v4, s[2:3] offset:4
	global_store_dword v1, v0, s[2:3]
	s_endpgm
	.section	.rodata,"a",@progbits
	.p2align	6, 0x0
	.amdhsa_kernel _Z20warp_exchange_kernelILj1024ELj5ELj8ELN6hipcub21WarpExchangeAlgorithmE0E18BlockedToStripedOpcEvPT4_S4_
		.amdhsa_group_segment_fixed_size 5120
		.amdhsa_private_segment_fixed_size 0
		.amdhsa_kernarg_size 16
		.amdhsa_user_sgpr_count 6
		.amdhsa_user_sgpr_private_segment_buffer 1
		.amdhsa_user_sgpr_dispatch_ptr 0
		.amdhsa_user_sgpr_queue_ptr 0
		.amdhsa_user_sgpr_kernarg_segment_ptr 1
		.amdhsa_user_sgpr_dispatch_id 0
		.amdhsa_user_sgpr_flat_scratch_init 0
		.amdhsa_user_sgpr_kernarg_preload_length 0
		.amdhsa_user_sgpr_kernarg_preload_offset 0
		.amdhsa_user_sgpr_private_segment_size 0
		.amdhsa_uses_dynamic_stack 0
		.amdhsa_system_sgpr_private_segment_wavefront_offset 0
		.amdhsa_system_sgpr_workgroup_id_x 1
		.amdhsa_system_sgpr_workgroup_id_y 0
		.amdhsa_system_sgpr_workgroup_id_z 0
		.amdhsa_system_sgpr_workgroup_info 0
		.amdhsa_system_vgpr_workitem_id 0
		.amdhsa_next_free_vgpr 7
		.amdhsa_next_free_sgpr 6
		.amdhsa_accum_offset 8
		.amdhsa_reserve_vcc 0
		.amdhsa_reserve_flat_scratch 0
		.amdhsa_float_round_mode_32 0
		.amdhsa_float_round_mode_16_64 0
		.amdhsa_float_denorm_mode_32 3
		.amdhsa_float_denorm_mode_16_64 3
		.amdhsa_dx10_clamp 1
		.amdhsa_ieee_mode 1
		.amdhsa_fp16_overflow 0
		.amdhsa_tg_split 0
		.amdhsa_exception_fp_ieee_invalid_op 0
		.amdhsa_exception_fp_denorm_src 0
		.amdhsa_exception_fp_ieee_div_zero 0
		.amdhsa_exception_fp_ieee_overflow 0
		.amdhsa_exception_fp_ieee_underflow 0
		.amdhsa_exception_fp_ieee_inexact 0
		.amdhsa_exception_int_div_zero 0
	.end_amdhsa_kernel
	.section	.text._Z20warp_exchange_kernelILj1024ELj5ELj8ELN6hipcub21WarpExchangeAlgorithmE0E18BlockedToStripedOpcEvPT4_S4_,"axG",@progbits,_Z20warp_exchange_kernelILj1024ELj5ELj8ELN6hipcub21WarpExchangeAlgorithmE0E18BlockedToStripedOpcEvPT4_S4_,comdat
.Lfunc_end125:
	.size	_Z20warp_exchange_kernelILj1024ELj5ELj8ELN6hipcub21WarpExchangeAlgorithmE0E18BlockedToStripedOpcEvPT4_S4_, .Lfunc_end125-_Z20warp_exchange_kernelILj1024ELj5ELj8ELN6hipcub21WarpExchangeAlgorithmE0E18BlockedToStripedOpcEvPT4_S4_
                                        ; -- End function
	.section	.AMDGPU.csdata,"",@progbits
; Kernel info:
; codeLenInByte = 208
; NumSgprs: 10
; NumVgprs: 7
; NumAgprs: 0
; TotalNumVgprs: 7
; ScratchSize: 0
; MemoryBound: 0
; FloatMode: 240
; IeeeMode: 1
; LDSByteSize: 5120 bytes/workgroup (compile time only)
; SGPRBlocks: 1
; VGPRBlocks: 0
; NumSGPRsForWavesPerEU: 10
; NumVGPRsForWavesPerEU: 7
; AccumOffset: 8
; Occupancy: 8
; WaveLimiterHint : 0
; COMPUTE_PGM_RSRC2:SCRATCH_EN: 0
; COMPUTE_PGM_RSRC2:USER_SGPR: 6
; COMPUTE_PGM_RSRC2:TRAP_HANDLER: 0
; COMPUTE_PGM_RSRC2:TGID_X_EN: 1
; COMPUTE_PGM_RSRC2:TGID_Y_EN: 0
; COMPUTE_PGM_RSRC2:TGID_Z_EN: 0
; COMPUTE_PGM_RSRC2:TIDIG_COMP_CNT: 0
; COMPUTE_PGM_RSRC3_GFX90A:ACCUM_OFFSET: 1
; COMPUTE_PGM_RSRC3_GFX90A:TG_SPLIT: 0
	.section	.text._Z20warp_exchange_kernelILj1024ELj4ELj8ELN6hipcub21WarpExchangeAlgorithmE0E18BlockedToStripedOpcEvPT4_S4_,"axG",@progbits,_Z20warp_exchange_kernelILj1024ELj4ELj8ELN6hipcub21WarpExchangeAlgorithmE0E18BlockedToStripedOpcEvPT4_S4_,comdat
	.protected	_Z20warp_exchange_kernelILj1024ELj4ELj8ELN6hipcub21WarpExchangeAlgorithmE0E18BlockedToStripedOpcEvPT4_S4_ ; -- Begin function _Z20warp_exchange_kernelILj1024ELj4ELj8ELN6hipcub21WarpExchangeAlgorithmE0E18BlockedToStripedOpcEvPT4_S4_
	.globl	_Z20warp_exchange_kernelILj1024ELj4ELj8ELN6hipcub21WarpExchangeAlgorithmE0E18BlockedToStripedOpcEvPT4_S4_
	.p2align	8
	.type	_Z20warp_exchange_kernelILj1024ELj4ELj8ELN6hipcub21WarpExchangeAlgorithmE0E18BlockedToStripedOpcEvPT4_S4_,@function
_Z20warp_exchange_kernelILj1024ELj4ELj8ELN6hipcub21WarpExchangeAlgorithmE0E18BlockedToStripedOpcEvPT4_S4_: ; @_Z20warp_exchange_kernelILj1024ELj4ELj8ELN6hipcub21WarpExchangeAlgorithmE0E18BlockedToStripedOpcEvPT4_S4_
; %bb.0:
	s_load_dwordx4 s[0:3], s[4:5], 0x0
	v_lshlrev_b32_e32 v0, 2, v0
	v_mbcnt_lo_u32_b32 v2, -1, 0
	v_mbcnt_hi_u32_b32 v2, -1, v2
	v_and_b32_e32 v3, 0xfe0, v0
	s_waitcnt lgkmcnt(0)
	global_load_dword v1, v0, s[0:1]
	v_and_b32_e32 v2, 7, v2
	v_lshl_or_b32 v4, v2, 2, v3
	v_or_b32_e32 v2, v3, v2
	s_waitcnt vmcnt(0)
	ds_write_b32 v4, v1
	; wave barrier
	ds_read_u8 v1, v2 offset:8
	ds_read_u8 v3, v2 offset:24
	ds_read_u8 v4, v2
	ds_read_u8 v2, v2 offset:16
	s_waitcnt lgkmcnt(3)
	v_lshlrev_b16_e32 v1, 8, v1
	s_waitcnt lgkmcnt(2)
	v_lshlrev_b16_e32 v3, 8, v3
	s_waitcnt lgkmcnt(1)
	v_or_b32_e32 v1, v4, v1
	s_waitcnt lgkmcnt(0)
	v_or_b32_sdwa v2, v2, v3 dst_sel:WORD_1 dst_unused:UNUSED_PAD src0_sel:DWORD src1_sel:DWORD
	v_or_b32_sdwa v1, v1, v2 dst_sel:DWORD dst_unused:UNUSED_PAD src0_sel:WORD_0 src1_sel:DWORD
	global_store_dword v0, v1, s[2:3]
	s_endpgm
	.section	.rodata,"a",@progbits
	.p2align	6, 0x0
	.amdhsa_kernel _Z20warp_exchange_kernelILj1024ELj4ELj8ELN6hipcub21WarpExchangeAlgorithmE0E18BlockedToStripedOpcEvPT4_S4_
		.amdhsa_group_segment_fixed_size 4096
		.amdhsa_private_segment_fixed_size 0
		.amdhsa_kernarg_size 16
		.amdhsa_user_sgpr_count 6
		.amdhsa_user_sgpr_private_segment_buffer 1
		.amdhsa_user_sgpr_dispatch_ptr 0
		.amdhsa_user_sgpr_queue_ptr 0
		.amdhsa_user_sgpr_kernarg_segment_ptr 1
		.amdhsa_user_sgpr_dispatch_id 0
		.amdhsa_user_sgpr_flat_scratch_init 0
		.amdhsa_user_sgpr_kernarg_preload_length 0
		.amdhsa_user_sgpr_kernarg_preload_offset 0
		.amdhsa_user_sgpr_private_segment_size 0
		.amdhsa_uses_dynamic_stack 0
		.amdhsa_system_sgpr_private_segment_wavefront_offset 0
		.amdhsa_system_sgpr_workgroup_id_x 1
		.amdhsa_system_sgpr_workgroup_id_y 0
		.amdhsa_system_sgpr_workgroup_id_z 0
		.amdhsa_system_sgpr_workgroup_info 0
		.amdhsa_system_vgpr_workitem_id 0
		.amdhsa_next_free_vgpr 5
		.amdhsa_next_free_sgpr 6
		.amdhsa_accum_offset 8
		.amdhsa_reserve_vcc 0
		.amdhsa_reserve_flat_scratch 0
		.amdhsa_float_round_mode_32 0
		.amdhsa_float_round_mode_16_64 0
		.amdhsa_float_denorm_mode_32 3
		.amdhsa_float_denorm_mode_16_64 3
		.amdhsa_dx10_clamp 1
		.amdhsa_ieee_mode 1
		.amdhsa_fp16_overflow 0
		.amdhsa_tg_split 0
		.amdhsa_exception_fp_ieee_invalid_op 0
		.amdhsa_exception_fp_denorm_src 0
		.amdhsa_exception_fp_ieee_div_zero 0
		.amdhsa_exception_fp_ieee_overflow 0
		.amdhsa_exception_fp_ieee_underflow 0
		.amdhsa_exception_fp_ieee_inexact 0
		.amdhsa_exception_int_div_zero 0
	.end_amdhsa_kernel
	.section	.text._Z20warp_exchange_kernelILj1024ELj4ELj8ELN6hipcub21WarpExchangeAlgorithmE0E18BlockedToStripedOpcEvPT4_S4_,"axG",@progbits,_Z20warp_exchange_kernelILj1024ELj4ELj8ELN6hipcub21WarpExchangeAlgorithmE0E18BlockedToStripedOpcEvPT4_S4_,comdat
.Lfunc_end126:
	.size	_Z20warp_exchange_kernelILj1024ELj4ELj8ELN6hipcub21WarpExchangeAlgorithmE0E18BlockedToStripedOpcEvPT4_S4_, .Lfunc_end126-_Z20warp_exchange_kernelILj1024ELj4ELj8ELN6hipcub21WarpExchangeAlgorithmE0E18BlockedToStripedOpcEvPT4_S4_
                                        ; -- End function
	.section	.AMDGPU.csdata,"",@progbits
; Kernel info:
; codeLenInByte = 164
; NumSgprs: 10
; NumVgprs: 5
; NumAgprs: 0
; TotalNumVgprs: 5
; ScratchSize: 0
; MemoryBound: 0
; FloatMode: 240
; IeeeMode: 1
; LDSByteSize: 4096 bytes/workgroup (compile time only)
; SGPRBlocks: 1
; VGPRBlocks: 0
; NumSGPRsForWavesPerEU: 10
; NumVGPRsForWavesPerEU: 5
; AccumOffset: 8
; Occupancy: 8
; WaveLimiterHint : 0
; COMPUTE_PGM_RSRC2:SCRATCH_EN: 0
; COMPUTE_PGM_RSRC2:USER_SGPR: 6
; COMPUTE_PGM_RSRC2:TRAP_HANDLER: 0
; COMPUTE_PGM_RSRC2:TGID_X_EN: 1
; COMPUTE_PGM_RSRC2:TGID_Y_EN: 0
; COMPUTE_PGM_RSRC2:TGID_Z_EN: 0
; COMPUTE_PGM_RSRC2:TIDIG_COMP_CNT: 0
; COMPUTE_PGM_RSRC3_GFX90A:ACCUM_OFFSET: 1
; COMPUTE_PGM_RSRC3_GFX90A:TG_SPLIT: 0
	.section	.text._Z20warp_exchange_kernelILj1024ELj1ELj8ELN6hipcub21WarpExchangeAlgorithmE0E18BlockedToStripedOpcEvPT4_S4_,"axG",@progbits,_Z20warp_exchange_kernelILj1024ELj1ELj8ELN6hipcub21WarpExchangeAlgorithmE0E18BlockedToStripedOpcEvPT4_S4_,comdat
	.protected	_Z20warp_exchange_kernelILj1024ELj1ELj8ELN6hipcub21WarpExchangeAlgorithmE0E18BlockedToStripedOpcEvPT4_S4_ ; -- Begin function _Z20warp_exchange_kernelILj1024ELj1ELj8ELN6hipcub21WarpExchangeAlgorithmE0E18BlockedToStripedOpcEvPT4_S4_
	.globl	_Z20warp_exchange_kernelILj1024ELj1ELj8ELN6hipcub21WarpExchangeAlgorithmE0E18BlockedToStripedOpcEvPT4_S4_
	.p2align	8
	.type	_Z20warp_exchange_kernelILj1024ELj1ELj8ELN6hipcub21WarpExchangeAlgorithmE0E18BlockedToStripedOpcEvPT4_S4_,@function
_Z20warp_exchange_kernelILj1024ELj1ELj8ELN6hipcub21WarpExchangeAlgorithmE0E18BlockedToStripedOpcEvPT4_S4_: ; @_Z20warp_exchange_kernelILj1024ELj1ELj8ELN6hipcub21WarpExchangeAlgorithmE0E18BlockedToStripedOpcEvPT4_S4_
; %bb.0:
	s_load_dwordx4 s[0:3], s[4:5], 0x0
	v_mbcnt_lo_u32_b32 v2, -1, 0
	v_mbcnt_hi_u32_b32 v2, -1, v2
	v_and_b32_e32 v2, 7, v2
	s_waitcnt lgkmcnt(0)
	global_load_ubyte v1, v0, s[0:1]
	s_movk_i32 s0, 0x3f8
	v_and_or_b32 v2, v0, s0, v2
	s_waitcnt vmcnt(0)
	ds_write_b8 v2, v1
	; wave barrier
	ds_read_u8 v1, v2
	s_waitcnt lgkmcnt(0)
	global_store_byte v0, v1, s[2:3]
	s_endpgm
	.section	.rodata,"a",@progbits
	.p2align	6, 0x0
	.amdhsa_kernel _Z20warp_exchange_kernelILj1024ELj1ELj8ELN6hipcub21WarpExchangeAlgorithmE0E18BlockedToStripedOpcEvPT4_S4_
		.amdhsa_group_segment_fixed_size 1024
		.amdhsa_private_segment_fixed_size 0
		.amdhsa_kernarg_size 16
		.amdhsa_user_sgpr_count 6
		.amdhsa_user_sgpr_private_segment_buffer 1
		.amdhsa_user_sgpr_dispatch_ptr 0
		.amdhsa_user_sgpr_queue_ptr 0
		.amdhsa_user_sgpr_kernarg_segment_ptr 1
		.amdhsa_user_sgpr_dispatch_id 0
		.amdhsa_user_sgpr_flat_scratch_init 0
		.amdhsa_user_sgpr_kernarg_preload_length 0
		.amdhsa_user_sgpr_kernarg_preload_offset 0
		.amdhsa_user_sgpr_private_segment_size 0
		.amdhsa_uses_dynamic_stack 0
		.amdhsa_system_sgpr_private_segment_wavefront_offset 0
		.amdhsa_system_sgpr_workgroup_id_x 1
		.amdhsa_system_sgpr_workgroup_id_y 0
		.amdhsa_system_sgpr_workgroup_id_z 0
		.amdhsa_system_sgpr_workgroup_info 0
		.amdhsa_system_vgpr_workitem_id 0
		.amdhsa_next_free_vgpr 3
		.amdhsa_next_free_sgpr 6
		.amdhsa_accum_offset 4
		.amdhsa_reserve_vcc 0
		.amdhsa_reserve_flat_scratch 0
		.amdhsa_float_round_mode_32 0
		.amdhsa_float_round_mode_16_64 0
		.amdhsa_float_denorm_mode_32 3
		.amdhsa_float_denorm_mode_16_64 3
		.amdhsa_dx10_clamp 1
		.amdhsa_ieee_mode 1
		.amdhsa_fp16_overflow 0
		.amdhsa_tg_split 0
		.amdhsa_exception_fp_ieee_invalid_op 0
		.amdhsa_exception_fp_denorm_src 0
		.amdhsa_exception_fp_ieee_div_zero 0
		.amdhsa_exception_fp_ieee_overflow 0
		.amdhsa_exception_fp_ieee_underflow 0
		.amdhsa_exception_fp_ieee_inexact 0
		.amdhsa_exception_int_div_zero 0
	.end_amdhsa_kernel
	.section	.text._Z20warp_exchange_kernelILj1024ELj1ELj8ELN6hipcub21WarpExchangeAlgorithmE0E18BlockedToStripedOpcEvPT4_S4_,"axG",@progbits,_Z20warp_exchange_kernelILj1024ELj1ELj8ELN6hipcub21WarpExchangeAlgorithmE0E18BlockedToStripedOpcEvPT4_S4_,comdat
.Lfunc_end127:
	.size	_Z20warp_exchange_kernelILj1024ELj1ELj8ELN6hipcub21WarpExchangeAlgorithmE0E18BlockedToStripedOpcEvPT4_S4_, .Lfunc_end127-_Z20warp_exchange_kernelILj1024ELj1ELj8ELN6hipcub21WarpExchangeAlgorithmE0E18BlockedToStripedOpcEvPT4_S4_
                                        ; -- End function
	.section	.AMDGPU.csdata,"",@progbits
; Kernel info:
; codeLenInByte = 88
; NumSgprs: 10
; NumVgprs: 3
; NumAgprs: 0
; TotalNumVgprs: 3
; ScratchSize: 0
; MemoryBound: 0
; FloatMode: 240
; IeeeMode: 1
; LDSByteSize: 1024 bytes/workgroup (compile time only)
; SGPRBlocks: 1
; VGPRBlocks: 0
; NumSGPRsForWavesPerEU: 10
; NumVGPRsForWavesPerEU: 3
; AccumOffset: 4
; Occupancy: 8
; WaveLimiterHint : 0
; COMPUTE_PGM_RSRC2:SCRATCH_EN: 0
; COMPUTE_PGM_RSRC2:USER_SGPR: 6
; COMPUTE_PGM_RSRC2:TRAP_HANDLER: 0
; COMPUTE_PGM_RSRC2:TGID_X_EN: 1
; COMPUTE_PGM_RSRC2:TGID_Y_EN: 0
; COMPUTE_PGM_RSRC2:TGID_Z_EN: 0
; COMPUTE_PGM_RSRC2:TIDIG_COMP_CNT: 0
; COMPUTE_PGM_RSRC3_GFX90A:ACCUM_OFFSET: 0
; COMPUTE_PGM_RSRC3_GFX90A:TG_SPLIT: 0
	.section	.text._Z20warp_exchange_kernelILj1024ELj4ELj64ELN6hipcub21WarpExchangeAlgorithmE1E18BlockedToStripedOp6__halfEvPT4_S5_,"axG",@progbits,_Z20warp_exchange_kernelILj1024ELj4ELj64ELN6hipcub21WarpExchangeAlgorithmE1E18BlockedToStripedOp6__halfEvPT4_S5_,comdat
	.protected	_Z20warp_exchange_kernelILj1024ELj4ELj64ELN6hipcub21WarpExchangeAlgorithmE1E18BlockedToStripedOp6__halfEvPT4_S5_ ; -- Begin function _Z20warp_exchange_kernelILj1024ELj4ELj64ELN6hipcub21WarpExchangeAlgorithmE1E18BlockedToStripedOp6__halfEvPT4_S5_
	.globl	_Z20warp_exchange_kernelILj1024ELj4ELj64ELN6hipcub21WarpExchangeAlgorithmE1E18BlockedToStripedOp6__halfEvPT4_S5_
	.p2align	8
	.type	_Z20warp_exchange_kernelILj1024ELj4ELj64ELN6hipcub21WarpExchangeAlgorithmE1E18BlockedToStripedOp6__halfEvPT4_S5_,@function
_Z20warp_exchange_kernelILj1024ELj4ELj64ELN6hipcub21WarpExchangeAlgorithmE1E18BlockedToStripedOp6__halfEvPT4_S5_: ; @_Z20warp_exchange_kernelILj1024ELj4ELj64ELN6hipcub21WarpExchangeAlgorithmE1E18BlockedToStripedOp6__halfEvPT4_S5_
; %bb.0:
	s_load_dwordx4 s[0:3], s[4:5], 0x0
	v_lshlrev_b32_e32 v2, 3, v0
	v_mbcnt_lo_u32_b32 v3, -1, 0
	v_mbcnt_hi_u32_b32 v3, -1, v3
	v_lshrrev_b32_e32 v4, 2, v3
	s_waitcnt lgkmcnt(0)
	global_load_dwordx2 v[0:1], v2, s[0:1]
	v_and_b32_e32 v5, 64, v3
	v_or_b32_e32 v6, v4, v5
	v_add_u32_e32 v4, 48, v4
	v_and_or_b32 v4, v4, 63, v5
	v_lshlrev_b32_e32 v6, 2, v6
	v_lshlrev_b32_e32 v4, 2, v4
	v_and_b32_e32 v3, 3, v3
	v_cmp_eq_u32_e32 vcc, 1, v3
	s_mov_b32 s0, 0x5040100
	s_waitcnt vmcnt(0)
	v_lshrrev_b32_e32 v5, 16, v0
	v_and_b32_e32 v0, 0xffff, v0
	v_lshrrev_b32_e32 v7, 16, v1
	v_and_b32_e32 v1, 0xffff, v1
	ds_bpermute_b32 v8, v6, v0
	ds_bpermute_b32 v9, v6, v5
	ds_bpermute_b32 v12, v6, v0 offset:64
	ds_bpermute_b32 v13, v6, v5 offset:64
	;; [unrolled: 1-line block ×4, first 2 shown]
	ds_bpermute_b32 v0, v4, v0
	ds_bpermute_b32 v5, v4, v5
	ds_bpermute_b32 v10, v6, v1
	ds_bpermute_b32 v14, v6, v1 offset:64
	ds_bpermute_b32 v18, v6, v1 offset:128
	ds_bpermute_b32 v1, v4, v1
	ds_bpermute_b32 v11, v6, v7
	ds_bpermute_b32 v15, v6, v7 offset:64
	ds_bpermute_b32 v6, v6, v7 offset:128
	ds_bpermute_b32 v4, v4, v7
	s_waitcnt lgkmcnt(14)
	v_cndmask_b32_e32 v7, v8, v9, vcc
	s_waitcnt lgkmcnt(12)
	v_cndmask_b32_e32 v8, v12, v13, vcc
	;; [unrolled: 2-line block ×4, first 2 shown]
	v_cmp_eq_u32_e32 vcc, 2, v3
	s_waitcnt lgkmcnt(7)
	v_cndmask_b32_e32 v5, v7, v10, vcc
	s_waitcnt lgkmcnt(6)
	v_cndmask_b32_e32 v7, v8, v14, vcc
	;; [unrolled: 2-line block ×4, first 2 shown]
	v_cmp_eq_u32_e32 vcc, 3, v3
	s_waitcnt lgkmcnt(3)
	v_cndmask_b32_e32 v3, v5, v11, vcc
	s_waitcnt lgkmcnt(2)
	v_cndmask_b32_e32 v5, v7, v15, vcc
	;; [unrolled: 2-line block ×4, first 2 shown]
	v_perm_b32 v1, v0, v1, s0
	v_perm_b32 v0, v5, v3, s0
	global_store_dwordx2 v2, v[0:1], s[2:3]
	s_endpgm
	.section	.rodata,"a",@progbits
	.p2align	6, 0x0
	.amdhsa_kernel _Z20warp_exchange_kernelILj1024ELj4ELj64ELN6hipcub21WarpExchangeAlgorithmE1E18BlockedToStripedOp6__halfEvPT4_S5_
		.amdhsa_group_segment_fixed_size 0
		.amdhsa_private_segment_fixed_size 0
		.amdhsa_kernarg_size 16
		.amdhsa_user_sgpr_count 6
		.amdhsa_user_sgpr_private_segment_buffer 1
		.amdhsa_user_sgpr_dispatch_ptr 0
		.amdhsa_user_sgpr_queue_ptr 0
		.amdhsa_user_sgpr_kernarg_segment_ptr 1
		.amdhsa_user_sgpr_dispatch_id 0
		.amdhsa_user_sgpr_flat_scratch_init 0
		.amdhsa_user_sgpr_kernarg_preload_length 0
		.amdhsa_user_sgpr_kernarg_preload_offset 0
		.amdhsa_user_sgpr_private_segment_size 0
		.amdhsa_uses_dynamic_stack 0
		.amdhsa_system_sgpr_private_segment_wavefront_offset 0
		.amdhsa_system_sgpr_workgroup_id_x 1
		.amdhsa_system_sgpr_workgroup_id_y 0
		.amdhsa_system_sgpr_workgroup_id_z 0
		.amdhsa_system_sgpr_workgroup_info 0
		.amdhsa_system_vgpr_workitem_id 0
		.amdhsa_next_free_vgpr 19
		.amdhsa_next_free_sgpr 6
		.amdhsa_accum_offset 20
		.amdhsa_reserve_vcc 1
		.amdhsa_reserve_flat_scratch 0
		.amdhsa_float_round_mode_32 0
		.amdhsa_float_round_mode_16_64 0
		.amdhsa_float_denorm_mode_32 3
		.amdhsa_float_denorm_mode_16_64 3
		.amdhsa_dx10_clamp 1
		.amdhsa_ieee_mode 1
		.amdhsa_fp16_overflow 0
		.amdhsa_tg_split 0
		.amdhsa_exception_fp_ieee_invalid_op 0
		.amdhsa_exception_fp_denorm_src 0
		.amdhsa_exception_fp_ieee_div_zero 0
		.amdhsa_exception_fp_ieee_overflow 0
		.amdhsa_exception_fp_ieee_underflow 0
		.amdhsa_exception_fp_ieee_inexact 0
		.amdhsa_exception_int_div_zero 0
	.end_amdhsa_kernel
	.section	.text._Z20warp_exchange_kernelILj1024ELj4ELj64ELN6hipcub21WarpExchangeAlgorithmE1E18BlockedToStripedOp6__halfEvPT4_S5_,"axG",@progbits,_Z20warp_exchange_kernelILj1024ELj4ELj64ELN6hipcub21WarpExchangeAlgorithmE1E18BlockedToStripedOp6__halfEvPT4_S5_,comdat
.Lfunc_end128:
	.size	_Z20warp_exchange_kernelILj1024ELj4ELj64ELN6hipcub21WarpExchangeAlgorithmE1E18BlockedToStripedOp6__halfEvPT4_S5_, .Lfunc_end128-_Z20warp_exchange_kernelILj1024ELj4ELj64ELN6hipcub21WarpExchangeAlgorithmE1E18BlockedToStripedOp6__halfEvPT4_S5_
                                        ; -- End function
	.section	.AMDGPU.csdata,"",@progbits
; Kernel info:
; codeLenInByte = 376
; NumSgprs: 10
; NumVgprs: 19
; NumAgprs: 0
; TotalNumVgprs: 19
; ScratchSize: 0
; MemoryBound: 0
; FloatMode: 240
; IeeeMode: 1
; LDSByteSize: 0 bytes/workgroup (compile time only)
; SGPRBlocks: 1
; VGPRBlocks: 2
; NumSGPRsForWavesPerEU: 10
; NumVGPRsForWavesPerEU: 19
; AccumOffset: 20
; Occupancy: 8
; WaveLimiterHint : 0
; COMPUTE_PGM_RSRC2:SCRATCH_EN: 0
; COMPUTE_PGM_RSRC2:USER_SGPR: 6
; COMPUTE_PGM_RSRC2:TRAP_HANDLER: 0
; COMPUTE_PGM_RSRC2:TGID_X_EN: 1
; COMPUTE_PGM_RSRC2:TGID_Y_EN: 0
; COMPUTE_PGM_RSRC2:TGID_Z_EN: 0
; COMPUTE_PGM_RSRC2:TIDIG_COMP_CNT: 0
; COMPUTE_PGM_RSRC3_GFX90A:ACCUM_OFFSET: 4
; COMPUTE_PGM_RSRC3_GFX90A:TG_SPLIT: 0
	.section	.text._Z20warp_exchange_kernelILj1024ELj1ELj64ELN6hipcub21WarpExchangeAlgorithmE1E18BlockedToStripedOp6__halfEvPT4_S5_,"axG",@progbits,_Z20warp_exchange_kernelILj1024ELj1ELj64ELN6hipcub21WarpExchangeAlgorithmE1E18BlockedToStripedOp6__halfEvPT4_S5_,comdat
	.protected	_Z20warp_exchange_kernelILj1024ELj1ELj64ELN6hipcub21WarpExchangeAlgorithmE1E18BlockedToStripedOp6__halfEvPT4_S5_ ; -- Begin function _Z20warp_exchange_kernelILj1024ELj1ELj64ELN6hipcub21WarpExchangeAlgorithmE1E18BlockedToStripedOp6__halfEvPT4_S5_
	.globl	_Z20warp_exchange_kernelILj1024ELj1ELj64ELN6hipcub21WarpExchangeAlgorithmE1E18BlockedToStripedOp6__halfEvPT4_S5_
	.p2align	8
	.type	_Z20warp_exchange_kernelILj1024ELj1ELj64ELN6hipcub21WarpExchangeAlgorithmE1E18BlockedToStripedOp6__halfEvPT4_S5_,@function
_Z20warp_exchange_kernelILj1024ELj1ELj64ELN6hipcub21WarpExchangeAlgorithmE1E18BlockedToStripedOp6__halfEvPT4_S5_: ; @_Z20warp_exchange_kernelILj1024ELj1ELj64ELN6hipcub21WarpExchangeAlgorithmE1E18BlockedToStripedOp6__halfEvPT4_S5_
; %bb.0:
	s_load_dwordx4 s[0:3], s[4:5], 0x0
	v_lshlrev_b32_e32 v0, 1, v0
	v_mbcnt_lo_u32_b32 v2, -1, 0
	v_mbcnt_hi_u32_b32 v2, -1, v2
	v_lshlrev_b32_e32 v2, 2, v2
	s_waitcnt lgkmcnt(0)
	global_load_ushort v1, v0, s[0:1]
	s_waitcnt vmcnt(0)
	ds_bpermute_b32 v1, v2, v1
	s_waitcnt lgkmcnt(0)
	global_store_short v0, v1, s[2:3]
	s_endpgm
	.section	.rodata,"a",@progbits
	.p2align	6, 0x0
	.amdhsa_kernel _Z20warp_exchange_kernelILj1024ELj1ELj64ELN6hipcub21WarpExchangeAlgorithmE1E18BlockedToStripedOp6__halfEvPT4_S5_
		.amdhsa_group_segment_fixed_size 0
		.amdhsa_private_segment_fixed_size 0
		.amdhsa_kernarg_size 16
		.amdhsa_user_sgpr_count 6
		.amdhsa_user_sgpr_private_segment_buffer 1
		.amdhsa_user_sgpr_dispatch_ptr 0
		.amdhsa_user_sgpr_queue_ptr 0
		.amdhsa_user_sgpr_kernarg_segment_ptr 1
		.amdhsa_user_sgpr_dispatch_id 0
		.amdhsa_user_sgpr_flat_scratch_init 0
		.amdhsa_user_sgpr_kernarg_preload_length 0
		.amdhsa_user_sgpr_kernarg_preload_offset 0
		.amdhsa_user_sgpr_private_segment_size 0
		.amdhsa_uses_dynamic_stack 0
		.amdhsa_system_sgpr_private_segment_wavefront_offset 0
		.amdhsa_system_sgpr_workgroup_id_x 1
		.amdhsa_system_sgpr_workgroup_id_y 0
		.amdhsa_system_sgpr_workgroup_id_z 0
		.amdhsa_system_sgpr_workgroup_info 0
		.amdhsa_system_vgpr_workitem_id 0
		.amdhsa_next_free_vgpr 3
		.amdhsa_next_free_sgpr 6
		.amdhsa_accum_offset 4
		.amdhsa_reserve_vcc 0
		.amdhsa_reserve_flat_scratch 0
		.amdhsa_float_round_mode_32 0
		.amdhsa_float_round_mode_16_64 0
		.amdhsa_float_denorm_mode_32 3
		.amdhsa_float_denorm_mode_16_64 3
		.amdhsa_dx10_clamp 1
		.amdhsa_ieee_mode 1
		.amdhsa_fp16_overflow 0
		.amdhsa_tg_split 0
		.amdhsa_exception_fp_ieee_invalid_op 0
		.amdhsa_exception_fp_denorm_src 0
		.amdhsa_exception_fp_ieee_div_zero 0
		.amdhsa_exception_fp_ieee_overflow 0
		.amdhsa_exception_fp_ieee_underflow 0
		.amdhsa_exception_fp_ieee_inexact 0
		.amdhsa_exception_int_div_zero 0
	.end_amdhsa_kernel
	.section	.text._Z20warp_exchange_kernelILj1024ELj1ELj64ELN6hipcub21WarpExchangeAlgorithmE1E18BlockedToStripedOp6__halfEvPT4_S5_,"axG",@progbits,_Z20warp_exchange_kernelILj1024ELj1ELj64ELN6hipcub21WarpExchangeAlgorithmE1E18BlockedToStripedOp6__halfEvPT4_S5_,comdat
.Lfunc_end129:
	.size	_Z20warp_exchange_kernelILj1024ELj1ELj64ELN6hipcub21WarpExchangeAlgorithmE1E18BlockedToStripedOp6__halfEvPT4_S5_, .Lfunc_end129-_Z20warp_exchange_kernelILj1024ELj1ELj64ELN6hipcub21WarpExchangeAlgorithmE1E18BlockedToStripedOp6__halfEvPT4_S5_
                                        ; -- End function
	.section	.AMDGPU.csdata,"",@progbits
; Kernel info:
; codeLenInByte = 72
; NumSgprs: 10
; NumVgprs: 3
; NumAgprs: 0
; TotalNumVgprs: 3
; ScratchSize: 0
; MemoryBound: 0
; FloatMode: 240
; IeeeMode: 1
; LDSByteSize: 0 bytes/workgroup (compile time only)
; SGPRBlocks: 1
; VGPRBlocks: 0
; NumSGPRsForWavesPerEU: 10
; NumVGPRsForWavesPerEU: 3
; AccumOffset: 4
; Occupancy: 8
; WaveLimiterHint : 0
; COMPUTE_PGM_RSRC2:SCRATCH_EN: 0
; COMPUTE_PGM_RSRC2:USER_SGPR: 6
; COMPUTE_PGM_RSRC2:TRAP_HANDLER: 0
; COMPUTE_PGM_RSRC2:TGID_X_EN: 1
; COMPUTE_PGM_RSRC2:TGID_Y_EN: 0
; COMPUTE_PGM_RSRC2:TGID_Z_EN: 0
; COMPUTE_PGM_RSRC2:TIDIG_COMP_CNT: 0
; COMPUTE_PGM_RSRC3_GFX90A:ACCUM_OFFSET: 0
; COMPUTE_PGM_RSRC3_GFX90A:TG_SPLIT: 0
	.section	.text._Z20warp_exchange_kernelILj1024ELj4ELj32ELN6hipcub21WarpExchangeAlgorithmE1E18BlockedToStripedOp6__halfEvPT4_S5_,"axG",@progbits,_Z20warp_exchange_kernelILj1024ELj4ELj32ELN6hipcub21WarpExchangeAlgorithmE1E18BlockedToStripedOp6__halfEvPT4_S5_,comdat
	.protected	_Z20warp_exchange_kernelILj1024ELj4ELj32ELN6hipcub21WarpExchangeAlgorithmE1E18BlockedToStripedOp6__halfEvPT4_S5_ ; -- Begin function _Z20warp_exchange_kernelILj1024ELj4ELj32ELN6hipcub21WarpExchangeAlgorithmE1E18BlockedToStripedOp6__halfEvPT4_S5_
	.globl	_Z20warp_exchange_kernelILj1024ELj4ELj32ELN6hipcub21WarpExchangeAlgorithmE1E18BlockedToStripedOp6__halfEvPT4_S5_
	.p2align	8
	.type	_Z20warp_exchange_kernelILj1024ELj4ELj32ELN6hipcub21WarpExchangeAlgorithmE1E18BlockedToStripedOp6__halfEvPT4_S5_,@function
_Z20warp_exchange_kernelILj1024ELj4ELj32ELN6hipcub21WarpExchangeAlgorithmE1E18BlockedToStripedOp6__halfEvPT4_S5_: ; @_Z20warp_exchange_kernelILj1024ELj4ELj32ELN6hipcub21WarpExchangeAlgorithmE1E18BlockedToStripedOp6__halfEvPT4_S5_
; %bb.0:
	s_load_dwordx4 s[0:3], s[4:5], 0x0
	v_lshlrev_b32_e32 v2, 3, v0
	v_mbcnt_lo_u32_b32 v3, -1, 0
	v_mbcnt_hi_u32_b32 v3, -1, v3
	v_and_b32_e32 v4, 3, v3
	s_waitcnt lgkmcnt(0)
	global_load_dwordx2 v[0:1], v2, s[0:1]
	s_movk_i32 s0, 0x180
	v_lshlrev_b32_e32 v5, 2, v3
	v_and_b32_e32 v3, 28, v3
	v_and_or_b32 v3, v5, s0, v3
	v_cmp_eq_u32_e32 vcc, 1, v4
	s_mov_b32 s1, 0x5040100
	s_waitcnt vmcnt(0)
	v_lshrrev_b32_e32 v5, 16, v0
	v_and_b32_e32 v0, 0xffff, v0
	v_lshrrev_b32_e32 v6, 16, v1
	v_and_b32_e32 v1, 0xffff, v1
	ds_bpermute_b32 v7, v3, v0
	ds_bpermute_b32 v8, v3, v5
	ds_bpermute_b32 v11, v3, v0 offset:32
	ds_bpermute_b32 v12, v3, v5 offset:32
	;; [unrolled: 1-line block ×6, first 2 shown]
	ds_bpermute_b32 v9, v3, v1
	ds_bpermute_b32 v13, v3, v1 offset:32
	ds_bpermute_b32 v17, v3, v1 offset:64
	;; [unrolled: 1-line block ×3, first 2 shown]
	ds_bpermute_b32 v10, v3, v6
	ds_bpermute_b32 v14, v3, v6 offset:32
	ds_bpermute_b32 v18, v3, v6 offset:64
	;; [unrolled: 1-line block ×3, first 2 shown]
	s_waitcnt lgkmcnt(14)
	v_cndmask_b32_e32 v6, v7, v8, vcc
	s_waitcnt lgkmcnt(12)
	v_cndmask_b32_e32 v7, v11, v12, vcc
	;; [unrolled: 2-line block ×4, first 2 shown]
	v_cmp_eq_u32_e32 vcc, 2, v4
	s_waitcnt lgkmcnt(7)
	v_cndmask_b32_e32 v5, v6, v9, vcc
	s_waitcnt lgkmcnt(6)
	v_cndmask_b32_e32 v6, v7, v13, vcc
	;; [unrolled: 2-line block ×4, first 2 shown]
	v_cmp_eq_u32_e32 vcc, 3, v4
	s_waitcnt lgkmcnt(3)
	v_cndmask_b32_e32 v4, v5, v10, vcc
	s_waitcnt lgkmcnt(2)
	v_cndmask_b32_e32 v5, v6, v14, vcc
	;; [unrolled: 2-line block ×4, first 2 shown]
	v_perm_b32 v1, v0, v1, s1
	v_perm_b32 v0, v5, v4, s1
	global_store_dwordx2 v2, v[0:1], s[2:3]
	s_endpgm
	.section	.rodata,"a",@progbits
	.p2align	6, 0x0
	.amdhsa_kernel _Z20warp_exchange_kernelILj1024ELj4ELj32ELN6hipcub21WarpExchangeAlgorithmE1E18BlockedToStripedOp6__halfEvPT4_S5_
		.amdhsa_group_segment_fixed_size 0
		.amdhsa_private_segment_fixed_size 0
		.amdhsa_kernarg_size 16
		.amdhsa_user_sgpr_count 6
		.amdhsa_user_sgpr_private_segment_buffer 1
		.amdhsa_user_sgpr_dispatch_ptr 0
		.amdhsa_user_sgpr_queue_ptr 0
		.amdhsa_user_sgpr_kernarg_segment_ptr 1
		.amdhsa_user_sgpr_dispatch_id 0
		.amdhsa_user_sgpr_flat_scratch_init 0
		.amdhsa_user_sgpr_kernarg_preload_length 0
		.amdhsa_user_sgpr_kernarg_preload_offset 0
		.amdhsa_user_sgpr_private_segment_size 0
		.amdhsa_uses_dynamic_stack 0
		.amdhsa_system_sgpr_private_segment_wavefront_offset 0
		.amdhsa_system_sgpr_workgroup_id_x 1
		.amdhsa_system_sgpr_workgroup_id_y 0
		.amdhsa_system_sgpr_workgroup_id_z 0
		.amdhsa_system_sgpr_workgroup_info 0
		.amdhsa_system_vgpr_workitem_id 0
		.amdhsa_next_free_vgpr 19
		.amdhsa_next_free_sgpr 6
		.amdhsa_accum_offset 20
		.amdhsa_reserve_vcc 1
		.amdhsa_reserve_flat_scratch 0
		.amdhsa_float_round_mode_32 0
		.amdhsa_float_round_mode_16_64 0
		.amdhsa_float_denorm_mode_32 3
		.amdhsa_float_denorm_mode_16_64 3
		.amdhsa_dx10_clamp 1
		.amdhsa_ieee_mode 1
		.amdhsa_fp16_overflow 0
		.amdhsa_tg_split 0
		.amdhsa_exception_fp_ieee_invalid_op 0
		.amdhsa_exception_fp_denorm_src 0
		.amdhsa_exception_fp_ieee_div_zero 0
		.amdhsa_exception_fp_ieee_overflow 0
		.amdhsa_exception_fp_ieee_underflow 0
		.amdhsa_exception_fp_ieee_inexact 0
		.amdhsa_exception_int_div_zero 0
	.end_amdhsa_kernel
	.section	.text._Z20warp_exchange_kernelILj1024ELj4ELj32ELN6hipcub21WarpExchangeAlgorithmE1E18BlockedToStripedOp6__halfEvPT4_S5_,"axG",@progbits,_Z20warp_exchange_kernelILj1024ELj4ELj32ELN6hipcub21WarpExchangeAlgorithmE1E18BlockedToStripedOp6__halfEvPT4_S5_,comdat
.Lfunc_end130:
	.size	_Z20warp_exchange_kernelILj1024ELj4ELj32ELN6hipcub21WarpExchangeAlgorithmE1E18BlockedToStripedOp6__halfEvPT4_S5_, .Lfunc_end130-_Z20warp_exchange_kernelILj1024ELj4ELj32ELN6hipcub21WarpExchangeAlgorithmE1E18BlockedToStripedOp6__halfEvPT4_S5_
                                        ; -- End function
	.section	.AMDGPU.csdata,"",@progbits
; Kernel info:
; codeLenInByte = 364
; NumSgprs: 10
; NumVgprs: 19
; NumAgprs: 0
; TotalNumVgprs: 19
; ScratchSize: 0
; MemoryBound: 0
; FloatMode: 240
; IeeeMode: 1
; LDSByteSize: 0 bytes/workgroup (compile time only)
; SGPRBlocks: 1
; VGPRBlocks: 2
; NumSGPRsForWavesPerEU: 10
; NumVGPRsForWavesPerEU: 19
; AccumOffset: 20
; Occupancy: 8
; WaveLimiterHint : 0
; COMPUTE_PGM_RSRC2:SCRATCH_EN: 0
; COMPUTE_PGM_RSRC2:USER_SGPR: 6
; COMPUTE_PGM_RSRC2:TRAP_HANDLER: 0
; COMPUTE_PGM_RSRC2:TGID_X_EN: 1
; COMPUTE_PGM_RSRC2:TGID_Y_EN: 0
; COMPUTE_PGM_RSRC2:TGID_Z_EN: 0
; COMPUTE_PGM_RSRC2:TIDIG_COMP_CNT: 0
; COMPUTE_PGM_RSRC3_GFX90A:ACCUM_OFFSET: 4
; COMPUTE_PGM_RSRC3_GFX90A:TG_SPLIT: 0
	.section	.text._Z20warp_exchange_kernelILj1024ELj1ELj32ELN6hipcub21WarpExchangeAlgorithmE1E18BlockedToStripedOp6__halfEvPT4_S5_,"axG",@progbits,_Z20warp_exchange_kernelILj1024ELj1ELj32ELN6hipcub21WarpExchangeAlgorithmE1E18BlockedToStripedOp6__halfEvPT4_S5_,comdat
	.protected	_Z20warp_exchange_kernelILj1024ELj1ELj32ELN6hipcub21WarpExchangeAlgorithmE1E18BlockedToStripedOp6__halfEvPT4_S5_ ; -- Begin function _Z20warp_exchange_kernelILj1024ELj1ELj32ELN6hipcub21WarpExchangeAlgorithmE1E18BlockedToStripedOp6__halfEvPT4_S5_
	.globl	_Z20warp_exchange_kernelILj1024ELj1ELj32ELN6hipcub21WarpExchangeAlgorithmE1E18BlockedToStripedOp6__halfEvPT4_S5_
	.p2align	8
	.type	_Z20warp_exchange_kernelILj1024ELj1ELj32ELN6hipcub21WarpExchangeAlgorithmE1E18BlockedToStripedOp6__halfEvPT4_S5_,@function
_Z20warp_exchange_kernelILj1024ELj1ELj32ELN6hipcub21WarpExchangeAlgorithmE1E18BlockedToStripedOp6__halfEvPT4_S5_: ; @_Z20warp_exchange_kernelILj1024ELj1ELj32ELN6hipcub21WarpExchangeAlgorithmE1E18BlockedToStripedOp6__halfEvPT4_S5_
; %bb.0:
	s_load_dwordx4 s[0:3], s[4:5], 0x0
	v_lshlrev_b32_e32 v0, 1, v0
	v_mbcnt_lo_u32_b32 v2, -1, 0
	v_mbcnt_hi_u32_b32 v2, -1, v2
	v_lshlrev_b32_e32 v2, 2, v2
	s_waitcnt lgkmcnt(0)
	global_load_ushort v1, v0, s[0:1]
	s_waitcnt vmcnt(0)
	ds_bpermute_b32 v1, v2, v1
	s_waitcnt lgkmcnt(0)
	global_store_short v0, v1, s[2:3]
	s_endpgm
	.section	.rodata,"a",@progbits
	.p2align	6, 0x0
	.amdhsa_kernel _Z20warp_exchange_kernelILj1024ELj1ELj32ELN6hipcub21WarpExchangeAlgorithmE1E18BlockedToStripedOp6__halfEvPT4_S5_
		.amdhsa_group_segment_fixed_size 0
		.amdhsa_private_segment_fixed_size 0
		.amdhsa_kernarg_size 16
		.amdhsa_user_sgpr_count 6
		.amdhsa_user_sgpr_private_segment_buffer 1
		.amdhsa_user_sgpr_dispatch_ptr 0
		.amdhsa_user_sgpr_queue_ptr 0
		.amdhsa_user_sgpr_kernarg_segment_ptr 1
		.amdhsa_user_sgpr_dispatch_id 0
		.amdhsa_user_sgpr_flat_scratch_init 0
		.amdhsa_user_sgpr_kernarg_preload_length 0
		.amdhsa_user_sgpr_kernarg_preload_offset 0
		.amdhsa_user_sgpr_private_segment_size 0
		.amdhsa_uses_dynamic_stack 0
		.amdhsa_system_sgpr_private_segment_wavefront_offset 0
		.amdhsa_system_sgpr_workgroup_id_x 1
		.amdhsa_system_sgpr_workgroup_id_y 0
		.amdhsa_system_sgpr_workgroup_id_z 0
		.amdhsa_system_sgpr_workgroup_info 0
		.amdhsa_system_vgpr_workitem_id 0
		.amdhsa_next_free_vgpr 3
		.amdhsa_next_free_sgpr 6
		.amdhsa_accum_offset 4
		.amdhsa_reserve_vcc 0
		.amdhsa_reserve_flat_scratch 0
		.amdhsa_float_round_mode_32 0
		.amdhsa_float_round_mode_16_64 0
		.amdhsa_float_denorm_mode_32 3
		.amdhsa_float_denorm_mode_16_64 3
		.amdhsa_dx10_clamp 1
		.amdhsa_ieee_mode 1
		.amdhsa_fp16_overflow 0
		.amdhsa_tg_split 0
		.amdhsa_exception_fp_ieee_invalid_op 0
		.amdhsa_exception_fp_denorm_src 0
		.amdhsa_exception_fp_ieee_div_zero 0
		.amdhsa_exception_fp_ieee_overflow 0
		.amdhsa_exception_fp_ieee_underflow 0
		.amdhsa_exception_fp_ieee_inexact 0
		.amdhsa_exception_int_div_zero 0
	.end_amdhsa_kernel
	.section	.text._Z20warp_exchange_kernelILj1024ELj1ELj32ELN6hipcub21WarpExchangeAlgorithmE1E18BlockedToStripedOp6__halfEvPT4_S5_,"axG",@progbits,_Z20warp_exchange_kernelILj1024ELj1ELj32ELN6hipcub21WarpExchangeAlgorithmE1E18BlockedToStripedOp6__halfEvPT4_S5_,comdat
.Lfunc_end131:
	.size	_Z20warp_exchange_kernelILj1024ELj1ELj32ELN6hipcub21WarpExchangeAlgorithmE1E18BlockedToStripedOp6__halfEvPT4_S5_, .Lfunc_end131-_Z20warp_exchange_kernelILj1024ELj1ELj32ELN6hipcub21WarpExchangeAlgorithmE1E18BlockedToStripedOp6__halfEvPT4_S5_
                                        ; -- End function
	.section	.AMDGPU.csdata,"",@progbits
; Kernel info:
; codeLenInByte = 72
; NumSgprs: 10
; NumVgprs: 3
; NumAgprs: 0
; TotalNumVgprs: 3
; ScratchSize: 0
; MemoryBound: 0
; FloatMode: 240
; IeeeMode: 1
; LDSByteSize: 0 bytes/workgroup (compile time only)
; SGPRBlocks: 1
; VGPRBlocks: 0
; NumSGPRsForWavesPerEU: 10
; NumVGPRsForWavesPerEU: 3
; AccumOffset: 4
; Occupancy: 8
; WaveLimiterHint : 0
; COMPUTE_PGM_RSRC2:SCRATCH_EN: 0
; COMPUTE_PGM_RSRC2:USER_SGPR: 6
; COMPUTE_PGM_RSRC2:TRAP_HANDLER: 0
; COMPUTE_PGM_RSRC2:TGID_X_EN: 1
; COMPUTE_PGM_RSRC2:TGID_Y_EN: 0
; COMPUTE_PGM_RSRC2:TGID_Z_EN: 0
; COMPUTE_PGM_RSRC2:TIDIG_COMP_CNT: 0
; COMPUTE_PGM_RSRC3_GFX90A:ACCUM_OFFSET: 0
; COMPUTE_PGM_RSRC3_GFX90A:TG_SPLIT: 0
	.section	.text._Z20warp_exchange_kernelILj1024ELj4ELj16ELN6hipcub21WarpExchangeAlgorithmE1E18BlockedToStripedOp6__halfEvPT4_S5_,"axG",@progbits,_Z20warp_exchange_kernelILj1024ELj4ELj16ELN6hipcub21WarpExchangeAlgorithmE1E18BlockedToStripedOp6__halfEvPT4_S5_,comdat
	.protected	_Z20warp_exchange_kernelILj1024ELj4ELj16ELN6hipcub21WarpExchangeAlgorithmE1E18BlockedToStripedOp6__halfEvPT4_S5_ ; -- Begin function _Z20warp_exchange_kernelILj1024ELj4ELj16ELN6hipcub21WarpExchangeAlgorithmE1E18BlockedToStripedOp6__halfEvPT4_S5_
	.globl	_Z20warp_exchange_kernelILj1024ELj4ELj16ELN6hipcub21WarpExchangeAlgorithmE1E18BlockedToStripedOp6__halfEvPT4_S5_
	.p2align	8
	.type	_Z20warp_exchange_kernelILj1024ELj4ELj16ELN6hipcub21WarpExchangeAlgorithmE1E18BlockedToStripedOp6__halfEvPT4_S5_,@function
_Z20warp_exchange_kernelILj1024ELj4ELj16ELN6hipcub21WarpExchangeAlgorithmE1E18BlockedToStripedOp6__halfEvPT4_S5_: ; @_Z20warp_exchange_kernelILj1024ELj4ELj16ELN6hipcub21WarpExchangeAlgorithmE1E18BlockedToStripedOp6__halfEvPT4_S5_
; %bb.0:
	s_load_dwordx4 s[0:3], s[4:5], 0x0
	v_lshlrev_b32_e32 v2, 3, v0
	v_mbcnt_lo_u32_b32 v3, -1, 0
	v_mbcnt_hi_u32_b32 v3, -1, v3
	v_and_b32_e32 v4, 3, v3
	s_waitcnt lgkmcnt(0)
	global_load_dwordx2 v[0:1], v2, s[0:1]
	s_movk_i32 s0, 0x1c0
	v_lshlrev_b32_e32 v5, 2, v3
	v_and_b32_e32 v3, 12, v3
	v_and_or_b32 v3, v5, s0, v3
	v_cmp_eq_u32_e32 vcc, 1, v4
	s_mov_b32 s1, 0x5040100
	s_waitcnt vmcnt(0)
	v_lshrrev_b32_e32 v5, 16, v0
	v_and_b32_e32 v0, 0xffff, v0
	v_lshrrev_b32_e32 v6, 16, v1
	v_and_b32_e32 v1, 0xffff, v1
	ds_bpermute_b32 v7, v3, v0
	ds_bpermute_b32 v8, v3, v5
	ds_bpermute_b32 v11, v3, v0 offset:16
	ds_bpermute_b32 v12, v3, v5 offset:16
	;; [unrolled: 1-line block ×6, first 2 shown]
	ds_bpermute_b32 v9, v3, v1
	ds_bpermute_b32 v13, v3, v1 offset:16
	ds_bpermute_b32 v17, v3, v1 offset:32
	ds_bpermute_b32 v1, v3, v1 offset:48
	ds_bpermute_b32 v10, v3, v6
	ds_bpermute_b32 v14, v3, v6 offset:16
	ds_bpermute_b32 v18, v3, v6 offset:32
	;; [unrolled: 1-line block ×3, first 2 shown]
	s_waitcnt lgkmcnt(14)
	v_cndmask_b32_e32 v6, v7, v8, vcc
	s_waitcnt lgkmcnt(12)
	v_cndmask_b32_e32 v7, v11, v12, vcc
	;; [unrolled: 2-line block ×4, first 2 shown]
	v_cmp_eq_u32_e32 vcc, 2, v4
	s_waitcnt lgkmcnt(7)
	v_cndmask_b32_e32 v5, v6, v9, vcc
	s_waitcnt lgkmcnt(6)
	v_cndmask_b32_e32 v6, v7, v13, vcc
	;; [unrolled: 2-line block ×4, first 2 shown]
	v_cmp_eq_u32_e32 vcc, 3, v4
	s_waitcnt lgkmcnt(3)
	v_cndmask_b32_e32 v4, v5, v10, vcc
	s_waitcnt lgkmcnt(2)
	v_cndmask_b32_e32 v5, v6, v14, vcc
	;; [unrolled: 2-line block ×4, first 2 shown]
	v_perm_b32 v1, v0, v1, s1
	v_perm_b32 v0, v5, v4, s1
	global_store_dwordx2 v2, v[0:1], s[2:3]
	s_endpgm
	.section	.rodata,"a",@progbits
	.p2align	6, 0x0
	.amdhsa_kernel _Z20warp_exchange_kernelILj1024ELj4ELj16ELN6hipcub21WarpExchangeAlgorithmE1E18BlockedToStripedOp6__halfEvPT4_S5_
		.amdhsa_group_segment_fixed_size 0
		.amdhsa_private_segment_fixed_size 0
		.amdhsa_kernarg_size 16
		.amdhsa_user_sgpr_count 6
		.amdhsa_user_sgpr_private_segment_buffer 1
		.amdhsa_user_sgpr_dispatch_ptr 0
		.amdhsa_user_sgpr_queue_ptr 0
		.amdhsa_user_sgpr_kernarg_segment_ptr 1
		.amdhsa_user_sgpr_dispatch_id 0
		.amdhsa_user_sgpr_flat_scratch_init 0
		.amdhsa_user_sgpr_kernarg_preload_length 0
		.amdhsa_user_sgpr_kernarg_preload_offset 0
		.amdhsa_user_sgpr_private_segment_size 0
		.amdhsa_uses_dynamic_stack 0
		.amdhsa_system_sgpr_private_segment_wavefront_offset 0
		.amdhsa_system_sgpr_workgroup_id_x 1
		.amdhsa_system_sgpr_workgroup_id_y 0
		.amdhsa_system_sgpr_workgroup_id_z 0
		.amdhsa_system_sgpr_workgroup_info 0
		.amdhsa_system_vgpr_workitem_id 0
		.amdhsa_next_free_vgpr 19
		.amdhsa_next_free_sgpr 6
		.amdhsa_accum_offset 20
		.amdhsa_reserve_vcc 1
		.amdhsa_reserve_flat_scratch 0
		.amdhsa_float_round_mode_32 0
		.amdhsa_float_round_mode_16_64 0
		.amdhsa_float_denorm_mode_32 3
		.amdhsa_float_denorm_mode_16_64 3
		.amdhsa_dx10_clamp 1
		.amdhsa_ieee_mode 1
		.amdhsa_fp16_overflow 0
		.amdhsa_tg_split 0
		.amdhsa_exception_fp_ieee_invalid_op 0
		.amdhsa_exception_fp_denorm_src 0
		.amdhsa_exception_fp_ieee_div_zero 0
		.amdhsa_exception_fp_ieee_overflow 0
		.amdhsa_exception_fp_ieee_underflow 0
		.amdhsa_exception_fp_ieee_inexact 0
		.amdhsa_exception_int_div_zero 0
	.end_amdhsa_kernel
	.section	.text._Z20warp_exchange_kernelILj1024ELj4ELj16ELN6hipcub21WarpExchangeAlgorithmE1E18BlockedToStripedOp6__halfEvPT4_S5_,"axG",@progbits,_Z20warp_exchange_kernelILj1024ELj4ELj16ELN6hipcub21WarpExchangeAlgorithmE1E18BlockedToStripedOp6__halfEvPT4_S5_,comdat
.Lfunc_end132:
	.size	_Z20warp_exchange_kernelILj1024ELj4ELj16ELN6hipcub21WarpExchangeAlgorithmE1E18BlockedToStripedOp6__halfEvPT4_S5_, .Lfunc_end132-_Z20warp_exchange_kernelILj1024ELj4ELj16ELN6hipcub21WarpExchangeAlgorithmE1E18BlockedToStripedOp6__halfEvPT4_S5_
                                        ; -- End function
	.section	.AMDGPU.csdata,"",@progbits
; Kernel info:
; codeLenInByte = 364
; NumSgprs: 10
; NumVgprs: 19
; NumAgprs: 0
; TotalNumVgprs: 19
; ScratchSize: 0
; MemoryBound: 0
; FloatMode: 240
; IeeeMode: 1
; LDSByteSize: 0 bytes/workgroup (compile time only)
; SGPRBlocks: 1
; VGPRBlocks: 2
; NumSGPRsForWavesPerEU: 10
; NumVGPRsForWavesPerEU: 19
; AccumOffset: 20
; Occupancy: 8
; WaveLimiterHint : 0
; COMPUTE_PGM_RSRC2:SCRATCH_EN: 0
; COMPUTE_PGM_RSRC2:USER_SGPR: 6
; COMPUTE_PGM_RSRC2:TRAP_HANDLER: 0
; COMPUTE_PGM_RSRC2:TGID_X_EN: 1
; COMPUTE_PGM_RSRC2:TGID_Y_EN: 0
; COMPUTE_PGM_RSRC2:TGID_Z_EN: 0
; COMPUTE_PGM_RSRC2:TIDIG_COMP_CNT: 0
; COMPUTE_PGM_RSRC3_GFX90A:ACCUM_OFFSET: 4
; COMPUTE_PGM_RSRC3_GFX90A:TG_SPLIT: 0
	.section	.text._Z20warp_exchange_kernelILj1024ELj1ELj16ELN6hipcub21WarpExchangeAlgorithmE1E18BlockedToStripedOp6__halfEvPT4_S5_,"axG",@progbits,_Z20warp_exchange_kernelILj1024ELj1ELj16ELN6hipcub21WarpExchangeAlgorithmE1E18BlockedToStripedOp6__halfEvPT4_S5_,comdat
	.protected	_Z20warp_exchange_kernelILj1024ELj1ELj16ELN6hipcub21WarpExchangeAlgorithmE1E18BlockedToStripedOp6__halfEvPT4_S5_ ; -- Begin function _Z20warp_exchange_kernelILj1024ELj1ELj16ELN6hipcub21WarpExchangeAlgorithmE1E18BlockedToStripedOp6__halfEvPT4_S5_
	.globl	_Z20warp_exchange_kernelILj1024ELj1ELj16ELN6hipcub21WarpExchangeAlgorithmE1E18BlockedToStripedOp6__halfEvPT4_S5_
	.p2align	8
	.type	_Z20warp_exchange_kernelILj1024ELj1ELj16ELN6hipcub21WarpExchangeAlgorithmE1E18BlockedToStripedOp6__halfEvPT4_S5_,@function
_Z20warp_exchange_kernelILj1024ELj1ELj16ELN6hipcub21WarpExchangeAlgorithmE1E18BlockedToStripedOp6__halfEvPT4_S5_: ; @_Z20warp_exchange_kernelILj1024ELj1ELj16ELN6hipcub21WarpExchangeAlgorithmE1E18BlockedToStripedOp6__halfEvPT4_S5_
; %bb.0:
	s_load_dwordx4 s[0:3], s[4:5], 0x0
	v_lshlrev_b32_e32 v0, 1, v0
	v_mbcnt_lo_u32_b32 v2, -1, 0
	v_mbcnt_hi_u32_b32 v2, -1, v2
	v_lshlrev_b32_e32 v2, 2, v2
	s_waitcnt lgkmcnt(0)
	global_load_ushort v1, v0, s[0:1]
	s_waitcnt vmcnt(0)
	ds_bpermute_b32 v1, v2, v1
	s_waitcnt lgkmcnt(0)
	global_store_short v0, v1, s[2:3]
	s_endpgm
	.section	.rodata,"a",@progbits
	.p2align	6, 0x0
	.amdhsa_kernel _Z20warp_exchange_kernelILj1024ELj1ELj16ELN6hipcub21WarpExchangeAlgorithmE1E18BlockedToStripedOp6__halfEvPT4_S5_
		.amdhsa_group_segment_fixed_size 0
		.amdhsa_private_segment_fixed_size 0
		.amdhsa_kernarg_size 16
		.amdhsa_user_sgpr_count 6
		.amdhsa_user_sgpr_private_segment_buffer 1
		.amdhsa_user_sgpr_dispatch_ptr 0
		.amdhsa_user_sgpr_queue_ptr 0
		.amdhsa_user_sgpr_kernarg_segment_ptr 1
		.amdhsa_user_sgpr_dispatch_id 0
		.amdhsa_user_sgpr_flat_scratch_init 0
		.amdhsa_user_sgpr_kernarg_preload_length 0
		.amdhsa_user_sgpr_kernarg_preload_offset 0
		.amdhsa_user_sgpr_private_segment_size 0
		.amdhsa_uses_dynamic_stack 0
		.amdhsa_system_sgpr_private_segment_wavefront_offset 0
		.amdhsa_system_sgpr_workgroup_id_x 1
		.amdhsa_system_sgpr_workgroup_id_y 0
		.amdhsa_system_sgpr_workgroup_id_z 0
		.amdhsa_system_sgpr_workgroup_info 0
		.amdhsa_system_vgpr_workitem_id 0
		.amdhsa_next_free_vgpr 3
		.amdhsa_next_free_sgpr 6
		.amdhsa_accum_offset 4
		.amdhsa_reserve_vcc 0
		.amdhsa_reserve_flat_scratch 0
		.amdhsa_float_round_mode_32 0
		.amdhsa_float_round_mode_16_64 0
		.amdhsa_float_denorm_mode_32 3
		.amdhsa_float_denorm_mode_16_64 3
		.amdhsa_dx10_clamp 1
		.amdhsa_ieee_mode 1
		.amdhsa_fp16_overflow 0
		.amdhsa_tg_split 0
		.amdhsa_exception_fp_ieee_invalid_op 0
		.amdhsa_exception_fp_denorm_src 0
		.amdhsa_exception_fp_ieee_div_zero 0
		.amdhsa_exception_fp_ieee_overflow 0
		.amdhsa_exception_fp_ieee_underflow 0
		.amdhsa_exception_fp_ieee_inexact 0
		.amdhsa_exception_int_div_zero 0
	.end_amdhsa_kernel
	.section	.text._Z20warp_exchange_kernelILj1024ELj1ELj16ELN6hipcub21WarpExchangeAlgorithmE1E18BlockedToStripedOp6__halfEvPT4_S5_,"axG",@progbits,_Z20warp_exchange_kernelILj1024ELj1ELj16ELN6hipcub21WarpExchangeAlgorithmE1E18BlockedToStripedOp6__halfEvPT4_S5_,comdat
.Lfunc_end133:
	.size	_Z20warp_exchange_kernelILj1024ELj1ELj16ELN6hipcub21WarpExchangeAlgorithmE1E18BlockedToStripedOp6__halfEvPT4_S5_, .Lfunc_end133-_Z20warp_exchange_kernelILj1024ELj1ELj16ELN6hipcub21WarpExchangeAlgorithmE1E18BlockedToStripedOp6__halfEvPT4_S5_
                                        ; -- End function
	.section	.AMDGPU.csdata,"",@progbits
; Kernel info:
; codeLenInByte = 72
; NumSgprs: 10
; NumVgprs: 3
; NumAgprs: 0
; TotalNumVgprs: 3
; ScratchSize: 0
; MemoryBound: 0
; FloatMode: 240
; IeeeMode: 1
; LDSByteSize: 0 bytes/workgroup (compile time only)
; SGPRBlocks: 1
; VGPRBlocks: 0
; NumSGPRsForWavesPerEU: 10
; NumVGPRsForWavesPerEU: 3
; AccumOffset: 4
; Occupancy: 8
; WaveLimiterHint : 0
; COMPUTE_PGM_RSRC2:SCRATCH_EN: 0
; COMPUTE_PGM_RSRC2:USER_SGPR: 6
; COMPUTE_PGM_RSRC2:TRAP_HANDLER: 0
; COMPUTE_PGM_RSRC2:TGID_X_EN: 1
; COMPUTE_PGM_RSRC2:TGID_Y_EN: 0
; COMPUTE_PGM_RSRC2:TGID_Z_EN: 0
; COMPUTE_PGM_RSRC2:TIDIG_COMP_CNT: 0
; COMPUTE_PGM_RSRC3_GFX90A:ACCUM_OFFSET: 0
; COMPUTE_PGM_RSRC3_GFX90A:TG_SPLIT: 0
	.section	.text._Z20warp_exchange_kernelILj1024ELj4ELj8ELN6hipcub21WarpExchangeAlgorithmE1E18BlockedToStripedOp6__halfEvPT4_S5_,"axG",@progbits,_Z20warp_exchange_kernelILj1024ELj4ELj8ELN6hipcub21WarpExchangeAlgorithmE1E18BlockedToStripedOp6__halfEvPT4_S5_,comdat
	.protected	_Z20warp_exchange_kernelILj1024ELj4ELj8ELN6hipcub21WarpExchangeAlgorithmE1E18BlockedToStripedOp6__halfEvPT4_S5_ ; -- Begin function _Z20warp_exchange_kernelILj1024ELj4ELj8ELN6hipcub21WarpExchangeAlgorithmE1E18BlockedToStripedOp6__halfEvPT4_S5_
	.globl	_Z20warp_exchange_kernelILj1024ELj4ELj8ELN6hipcub21WarpExchangeAlgorithmE1E18BlockedToStripedOp6__halfEvPT4_S5_
	.p2align	8
	.type	_Z20warp_exchange_kernelILj1024ELj4ELj8ELN6hipcub21WarpExchangeAlgorithmE1E18BlockedToStripedOp6__halfEvPT4_S5_,@function
_Z20warp_exchange_kernelILj1024ELj4ELj8ELN6hipcub21WarpExchangeAlgorithmE1E18BlockedToStripedOp6__halfEvPT4_S5_: ; @_Z20warp_exchange_kernelILj1024ELj4ELj8ELN6hipcub21WarpExchangeAlgorithmE1E18BlockedToStripedOp6__halfEvPT4_S5_
; %bb.0:
	s_load_dwordx4 s[0:3], s[4:5], 0x0
	v_lshlrev_b32_e32 v2, 3, v0
	v_mbcnt_lo_u32_b32 v3, -1, 0
	v_mbcnt_hi_u32_b32 v3, -1, v3
	v_and_b32_e32 v4, 3, v3
	s_waitcnt lgkmcnt(0)
	global_load_dwordx2 v[0:1], v2, s[0:1]
	s_movk_i32 s0, 0x1e0
	v_lshlrev_b32_e32 v5, 2, v3
	v_and_b32_e32 v3, 4, v3
	v_and_or_b32 v3, v5, s0, v3
	v_cmp_eq_u32_e32 vcc, 1, v4
	s_mov_b32 s1, 0x5040100
	s_waitcnt vmcnt(0)
	v_lshrrev_b32_e32 v5, 16, v0
	v_and_b32_e32 v0, 0xffff, v0
	v_lshrrev_b32_e32 v6, 16, v1
	v_and_b32_e32 v1, 0xffff, v1
	ds_bpermute_b32 v7, v3, v0
	ds_bpermute_b32 v8, v3, v5
	ds_bpermute_b32 v11, v3, v0 offset:8
	ds_bpermute_b32 v12, v3, v5 offset:8
	;; [unrolled: 1-line block ×6, first 2 shown]
	ds_bpermute_b32 v9, v3, v1
	ds_bpermute_b32 v13, v3, v1 offset:8
	ds_bpermute_b32 v17, v3, v1 offset:16
	;; [unrolled: 1-line block ×3, first 2 shown]
	ds_bpermute_b32 v10, v3, v6
	ds_bpermute_b32 v14, v3, v6 offset:8
	ds_bpermute_b32 v18, v3, v6 offset:16
	;; [unrolled: 1-line block ×3, first 2 shown]
	s_waitcnt lgkmcnt(14)
	v_cndmask_b32_e32 v6, v7, v8, vcc
	s_waitcnt lgkmcnt(12)
	v_cndmask_b32_e32 v7, v11, v12, vcc
	;; [unrolled: 2-line block ×4, first 2 shown]
	v_cmp_eq_u32_e32 vcc, 2, v4
	s_waitcnt lgkmcnt(7)
	v_cndmask_b32_e32 v5, v6, v9, vcc
	s_waitcnt lgkmcnt(6)
	v_cndmask_b32_e32 v6, v7, v13, vcc
	;; [unrolled: 2-line block ×4, first 2 shown]
	v_cmp_eq_u32_e32 vcc, 3, v4
	s_waitcnt lgkmcnt(3)
	v_cndmask_b32_e32 v4, v5, v10, vcc
	s_waitcnt lgkmcnt(2)
	v_cndmask_b32_e32 v5, v6, v14, vcc
	;; [unrolled: 2-line block ×4, first 2 shown]
	v_perm_b32 v1, v0, v1, s1
	v_perm_b32 v0, v5, v4, s1
	global_store_dwordx2 v2, v[0:1], s[2:3]
	s_endpgm
	.section	.rodata,"a",@progbits
	.p2align	6, 0x0
	.amdhsa_kernel _Z20warp_exchange_kernelILj1024ELj4ELj8ELN6hipcub21WarpExchangeAlgorithmE1E18BlockedToStripedOp6__halfEvPT4_S5_
		.amdhsa_group_segment_fixed_size 0
		.amdhsa_private_segment_fixed_size 0
		.amdhsa_kernarg_size 16
		.amdhsa_user_sgpr_count 6
		.amdhsa_user_sgpr_private_segment_buffer 1
		.amdhsa_user_sgpr_dispatch_ptr 0
		.amdhsa_user_sgpr_queue_ptr 0
		.amdhsa_user_sgpr_kernarg_segment_ptr 1
		.amdhsa_user_sgpr_dispatch_id 0
		.amdhsa_user_sgpr_flat_scratch_init 0
		.amdhsa_user_sgpr_kernarg_preload_length 0
		.amdhsa_user_sgpr_kernarg_preload_offset 0
		.amdhsa_user_sgpr_private_segment_size 0
		.amdhsa_uses_dynamic_stack 0
		.amdhsa_system_sgpr_private_segment_wavefront_offset 0
		.amdhsa_system_sgpr_workgroup_id_x 1
		.amdhsa_system_sgpr_workgroup_id_y 0
		.amdhsa_system_sgpr_workgroup_id_z 0
		.amdhsa_system_sgpr_workgroup_info 0
		.amdhsa_system_vgpr_workitem_id 0
		.amdhsa_next_free_vgpr 19
		.amdhsa_next_free_sgpr 6
		.amdhsa_accum_offset 20
		.amdhsa_reserve_vcc 1
		.amdhsa_reserve_flat_scratch 0
		.amdhsa_float_round_mode_32 0
		.amdhsa_float_round_mode_16_64 0
		.amdhsa_float_denorm_mode_32 3
		.amdhsa_float_denorm_mode_16_64 3
		.amdhsa_dx10_clamp 1
		.amdhsa_ieee_mode 1
		.amdhsa_fp16_overflow 0
		.amdhsa_tg_split 0
		.amdhsa_exception_fp_ieee_invalid_op 0
		.amdhsa_exception_fp_denorm_src 0
		.amdhsa_exception_fp_ieee_div_zero 0
		.amdhsa_exception_fp_ieee_overflow 0
		.amdhsa_exception_fp_ieee_underflow 0
		.amdhsa_exception_fp_ieee_inexact 0
		.amdhsa_exception_int_div_zero 0
	.end_amdhsa_kernel
	.section	.text._Z20warp_exchange_kernelILj1024ELj4ELj8ELN6hipcub21WarpExchangeAlgorithmE1E18BlockedToStripedOp6__halfEvPT4_S5_,"axG",@progbits,_Z20warp_exchange_kernelILj1024ELj4ELj8ELN6hipcub21WarpExchangeAlgorithmE1E18BlockedToStripedOp6__halfEvPT4_S5_,comdat
.Lfunc_end134:
	.size	_Z20warp_exchange_kernelILj1024ELj4ELj8ELN6hipcub21WarpExchangeAlgorithmE1E18BlockedToStripedOp6__halfEvPT4_S5_, .Lfunc_end134-_Z20warp_exchange_kernelILj1024ELj4ELj8ELN6hipcub21WarpExchangeAlgorithmE1E18BlockedToStripedOp6__halfEvPT4_S5_
                                        ; -- End function
	.section	.AMDGPU.csdata,"",@progbits
; Kernel info:
; codeLenInByte = 364
; NumSgprs: 10
; NumVgprs: 19
; NumAgprs: 0
; TotalNumVgprs: 19
; ScratchSize: 0
; MemoryBound: 0
; FloatMode: 240
; IeeeMode: 1
; LDSByteSize: 0 bytes/workgroup (compile time only)
; SGPRBlocks: 1
; VGPRBlocks: 2
; NumSGPRsForWavesPerEU: 10
; NumVGPRsForWavesPerEU: 19
; AccumOffset: 20
; Occupancy: 8
; WaveLimiterHint : 0
; COMPUTE_PGM_RSRC2:SCRATCH_EN: 0
; COMPUTE_PGM_RSRC2:USER_SGPR: 6
; COMPUTE_PGM_RSRC2:TRAP_HANDLER: 0
; COMPUTE_PGM_RSRC2:TGID_X_EN: 1
; COMPUTE_PGM_RSRC2:TGID_Y_EN: 0
; COMPUTE_PGM_RSRC2:TGID_Z_EN: 0
; COMPUTE_PGM_RSRC2:TIDIG_COMP_CNT: 0
; COMPUTE_PGM_RSRC3_GFX90A:ACCUM_OFFSET: 4
; COMPUTE_PGM_RSRC3_GFX90A:TG_SPLIT: 0
	.section	.text._Z20warp_exchange_kernelILj1024ELj1ELj8ELN6hipcub21WarpExchangeAlgorithmE1E18BlockedToStripedOp6__halfEvPT4_S5_,"axG",@progbits,_Z20warp_exchange_kernelILj1024ELj1ELj8ELN6hipcub21WarpExchangeAlgorithmE1E18BlockedToStripedOp6__halfEvPT4_S5_,comdat
	.protected	_Z20warp_exchange_kernelILj1024ELj1ELj8ELN6hipcub21WarpExchangeAlgorithmE1E18BlockedToStripedOp6__halfEvPT4_S5_ ; -- Begin function _Z20warp_exchange_kernelILj1024ELj1ELj8ELN6hipcub21WarpExchangeAlgorithmE1E18BlockedToStripedOp6__halfEvPT4_S5_
	.globl	_Z20warp_exchange_kernelILj1024ELj1ELj8ELN6hipcub21WarpExchangeAlgorithmE1E18BlockedToStripedOp6__halfEvPT4_S5_
	.p2align	8
	.type	_Z20warp_exchange_kernelILj1024ELj1ELj8ELN6hipcub21WarpExchangeAlgorithmE1E18BlockedToStripedOp6__halfEvPT4_S5_,@function
_Z20warp_exchange_kernelILj1024ELj1ELj8ELN6hipcub21WarpExchangeAlgorithmE1E18BlockedToStripedOp6__halfEvPT4_S5_: ; @_Z20warp_exchange_kernelILj1024ELj1ELj8ELN6hipcub21WarpExchangeAlgorithmE1E18BlockedToStripedOp6__halfEvPT4_S5_
; %bb.0:
	s_load_dwordx4 s[0:3], s[4:5], 0x0
	v_lshlrev_b32_e32 v0, 1, v0
	v_mbcnt_lo_u32_b32 v2, -1, 0
	v_mbcnt_hi_u32_b32 v2, -1, v2
	v_lshlrev_b32_e32 v2, 2, v2
	s_waitcnt lgkmcnt(0)
	global_load_ushort v1, v0, s[0:1]
	s_waitcnt vmcnt(0)
	ds_bpermute_b32 v1, v2, v1
	s_waitcnt lgkmcnt(0)
	global_store_short v0, v1, s[2:3]
	s_endpgm
	.section	.rodata,"a",@progbits
	.p2align	6, 0x0
	.amdhsa_kernel _Z20warp_exchange_kernelILj1024ELj1ELj8ELN6hipcub21WarpExchangeAlgorithmE1E18BlockedToStripedOp6__halfEvPT4_S5_
		.amdhsa_group_segment_fixed_size 0
		.amdhsa_private_segment_fixed_size 0
		.amdhsa_kernarg_size 16
		.amdhsa_user_sgpr_count 6
		.amdhsa_user_sgpr_private_segment_buffer 1
		.amdhsa_user_sgpr_dispatch_ptr 0
		.amdhsa_user_sgpr_queue_ptr 0
		.amdhsa_user_sgpr_kernarg_segment_ptr 1
		.amdhsa_user_sgpr_dispatch_id 0
		.amdhsa_user_sgpr_flat_scratch_init 0
		.amdhsa_user_sgpr_kernarg_preload_length 0
		.amdhsa_user_sgpr_kernarg_preload_offset 0
		.amdhsa_user_sgpr_private_segment_size 0
		.amdhsa_uses_dynamic_stack 0
		.amdhsa_system_sgpr_private_segment_wavefront_offset 0
		.amdhsa_system_sgpr_workgroup_id_x 1
		.amdhsa_system_sgpr_workgroup_id_y 0
		.amdhsa_system_sgpr_workgroup_id_z 0
		.amdhsa_system_sgpr_workgroup_info 0
		.amdhsa_system_vgpr_workitem_id 0
		.amdhsa_next_free_vgpr 3
		.amdhsa_next_free_sgpr 6
		.amdhsa_accum_offset 4
		.amdhsa_reserve_vcc 0
		.amdhsa_reserve_flat_scratch 0
		.amdhsa_float_round_mode_32 0
		.amdhsa_float_round_mode_16_64 0
		.amdhsa_float_denorm_mode_32 3
		.amdhsa_float_denorm_mode_16_64 3
		.amdhsa_dx10_clamp 1
		.amdhsa_ieee_mode 1
		.amdhsa_fp16_overflow 0
		.amdhsa_tg_split 0
		.amdhsa_exception_fp_ieee_invalid_op 0
		.amdhsa_exception_fp_denorm_src 0
		.amdhsa_exception_fp_ieee_div_zero 0
		.amdhsa_exception_fp_ieee_overflow 0
		.amdhsa_exception_fp_ieee_underflow 0
		.amdhsa_exception_fp_ieee_inexact 0
		.amdhsa_exception_int_div_zero 0
	.end_amdhsa_kernel
	.section	.text._Z20warp_exchange_kernelILj1024ELj1ELj8ELN6hipcub21WarpExchangeAlgorithmE1E18BlockedToStripedOp6__halfEvPT4_S5_,"axG",@progbits,_Z20warp_exchange_kernelILj1024ELj1ELj8ELN6hipcub21WarpExchangeAlgorithmE1E18BlockedToStripedOp6__halfEvPT4_S5_,comdat
.Lfunc_end135:
	.size	_Z20warp_exchange_kernelILj1024ELj1ELj8ELN6hipcub21WarpExchangeAlgorithmE1E18BlockedToStripedOp6__halfEvPT4_S5_, .Lfunc_end135-_Z20warp_exchange_kernelILj1024ELj1ELj8ELN6hipcub21WarpExchangeAlgorithmE1E18BlockedToStripedOp6__halfEvPT4_S5_
                                        ; -- End function
	.section	.AMDGPU.csdata,"",@progbits
; Kernel info:
; codeLenInByte = 72
; NumSgprs: 10
; NumVgprs: 3
; NumAgprs: 0
; TotalNumVgprs: 3
; ScratchSize: 0
; MemoryBound: 0
; FloatMode: 240
; IeeeMode: 1
; LDSByteSize: 0 bytes/workgroup (compile time only)
; SGPRBlocks: 1
; VGPRBlocks: 0
; NumSGPRsForWavesPerEU: 10
; NumVGPRsForWavesPerEU: 3
; AccumOffset: 4
; Occupancy: 8
; WaveLimiterHint : 0
; COMPUTE_PGM_RSRC2:SCRATCH_EN: 0
; COMPUTE_PGM_RSRC2:USER_SGPR: 6
; COMPUTE_PGM_RSRC2:TRAP_HANDLER: 0
; COMPUTE_PGM_RSRC2:TGID_X_EN: 1
; COMPUTE_PGM_RSRC2:TGID_Y_EN: 0
; COMPUTE_PGM_RSRC2:TGID_Z_EN: 0
; COMPUTE_PGM_RSRC2:TIDIG_COMP_CNT: 0
; COMPUTE_PGM_RSRC3_GFX90A:ACCUM_OFFSET: 0
; COMPUTE_PGM_RSRC3_GFX90A:TG_SPLIT: 0
	.section	.text._Z20warp_exchange_kernelILj1024ELj4ELj64ELN6hipcub21WarpExchangeAlgorithmE1E18BlockedToStripedOpdEvPT4_S4_,"axG",@progbits,_Z20warp_exchange_kernelILj1024ELj4ELj64ELN6hipcub21WarpExchangeAlgorithmE1E18BlockedToStripedOpdEvPT4_S4_,comdat
	.protected	_Z20warp_exchange_kernelILj1024ELj4ELj64ELN6hipcub21WarpExchangeAlgorithmE1E18BlockedToStripedOpdEvPT4_S4_ ; -- Begin function _Z20warp_exchange_kernelILj1024ELj4ELj64ELN6hipcub21WarpExchangeAlgorithmE1E18BlockedToStripedOpdEvPT4_S4_
	.globl	_Z20warp_exchange_kernelILj1024ELj4ELj64ELN6hipcub21WarpExchangeAlgorithmE1E18BlockedToStripedOpdEvPT4_S4_
	.p2align	8
	.type	_Z20warp_exchange_kernelILj1024ELj4ELj64ELN6hipcub21WarpExchangeAlgorithmE1E18BlockedToStripedOpdEvPT4_S4_,@function
_Z20warp_exchange_kernelILj1024ELj4ELj64ELN6hipcub21WarpExchangeAlgorithmE1E18BlockedToStripedOpdEvPT4_S4_: ; @_Z20warp_exchange_kernelILj1024ELj4ELj64ELN6hipcub21WarpExchangeAlgorithmE1E18BlockedToStripedOpdEvPT4_S4_
; %bb.0:
	s_load_dwordx4 s[0:3], s[4:5], 0x0
	v_lshlrev_b32_e32 v8, 5, v0
	v_mbcnt_lo_u32_b32 v9, -1, 0
	v_mbcnt_hi_u32_b32 v9, -1, v9
	v_lshrrev_b32_e32 v10, 2, v9
	s_waitcnt lgkmcnt(0)
	global_load_dwordx4 v[0:3], v8, s[0:1]
	global_load_dwordx4 v[4:7], v8, s[0:1] offset:16
	v_and_b32_e32 v11, 64, v9
	v_or_b32_e32 v12, v10, v11
	v_add_u32_e32 v10, 48, v10
	v_and_or_b32 v10, v10, 63, v11
	v_lshlrev_b32_e32 v12, 2, v12
	v_lshlrev_b32_e32 v10, 2, v10
	v_and_b32_e32 v9, 3, v9
	v_cmp_eq_u32_e32 vcc, 1, v9
	s_waitcnt vmcnt(1)
	ds_bpermute_b32 v11, v12, v0
	ds_bpermute_b32 v13, v12, v1
	;; [unrolled: 1-line block ×4, first 2 shown]
	ds_bpermute_b32 v20, v12, v0 offset:64
	ds_bpermute_b32 v21, v12, v1 offset:64
	;; [unrolled: 1-line block ×8, first 2 shown]
	ds_bpermute_b32 v0, v10, v0
	ds_bpermute_b32 v1, v10, v1
	;; [unrolled: 1-line block ×4, first 2 shown]
	s_waitcnt vmcnt(0)
	ds_bpermute_b32 v16, v12, v4
	ds_bpermute_b32 v17, v12, v5
	ds_bpermute_b32 v24, v12, v4 offset:64
	ds_bpermute_b32 v25, v12, v5 offset:64
	;; [unrolled: 1-line block ×4, first 2 shown]
	ds_bpermute_b32 v4, v10, v4
	ds_bpermute_b32 v5, v10, v5
	;; [unrolled: 1-line block ×4, first 2 shown]
	ds_bpermute_b32 v26, v12, v6 offset:64
	ds_bpermute_b32 v27, v12, v7 offset:64
	ds_bpermute_b32 v34, v12, v6 offset:128
	ds_bpermute_b32 v12, v12, v7 offset:128
	ds_bpermute_b32 v6, v10, v6
	ds_bpermute_b32 v7, v10, v7
	s_waitcnt lgkmcnt(14)
	v_cndmask_b32_e32 v10, v13, v15, vcc
	v_cndmask_b32_e32 v11, v11, v14, vcc
	;; [unrolled: 1-line block ×8, first 2 shown]
	v_cmp_eq_u32_e32 vcc, 2, v9
	v_cndmask_b32_e32 v2, v11, v16, vcc
	v_cndmask_b32_e32 v3, v10, v17, vcc
	s_waitcnt lgkmcnt(13)
	v_cndmask_b32_e32 v10, v14, v24, vcc
	s_waitcnt lgkmcnt(12)
	;; [unrolled: 2-line block ×6, first 2 shown]
	v_cndmask_b32_e32 v16, v1, v5, vcc
	v_cmp_eq_u32_e32 vcc, 3, v9
	s_waitcnt lgkmcnt(6)
	v_cndmask_b32_e32 v1, v3, v19, vcc
	v_cndmask_b32_e32 v0, v2, v18, vcc
	s_waitcnt lgkmcnt(4)
	v_cndmask_b32_e32 v3, v11, v27, vcc
	v_cndmask_b32_e32 v2, v10, v26, vcc
	;; [unrolled: 3-line block ×4, first 2 shown]
	global_store_dwordx4 v8, v[0:3], s[2:3]
	global_store_dwordx4 v8, v[4:7], s[2:3] offset:16
	s_endpgm
	.section	.rodata,"a",@progbits
	.p2align	6, 0x0
	.amdhsa_kernel _Z20warp_exchange_kernelILj1024ELj4ELj64ELN6hipcub21WarpExchangeAlgorithmE1E18BlockedToStripedOpdEvPT4_S4_
		.amdhsa_group_segment_fixed_size 0
		.amdhsa_private_segment_fixed_size 0
		.amdhsa_kernarg_size 16
		.amdhsa_user_sgpr_count 6
		.amdhsa_user_sgpr_private_segment_buffer 1
		.amdhsa_user_sgpr_dispatch_ptr 0
		.amdhsa_user_sgpr_queue_ptr 0
		.amdhsa_user_sgpr_kernarg_segment_ptr 1
		.amdhsa_user_sgpr_dispatch_id 0
		.amdhsa_user_sgpr_flat_scratch_init 0
		.amdhsa_user_sgpr_kernarg_preload_length 0
		.amdhsa_user_sgpr_kernarg_preload_offset 0
		.amdhsa_user_sgpr_private_segment_size 0
		.amdhsa_uses_dynamic_stack 0
		.amdhsa_system_sgpr_private_segment_wavefront_offset 0
		.amdhsa_system_sgpr_workgroup_id_x 1
		.amdhsa_system_sgpr_workgroup_id_y 0
		.amdhsa_system_sgpr_workgroup_id_z 0
		.amdhsa_system_sgpr_workgroup_info 0
		.amdhsa_system_vgpr_workitem_id 0
		.amdhsa_next_free_vgpr 35
		.amdhsa_next_free_sgpr 6
		.amdhsa_accum_offset 36
		.amdhsa_reserve_vcc 1
		.amdhsa_reserve_flat_scratch 0
		.amdhsa_float_round_mode_32 0
		.amdhsa_float_round_mode_16_64 0
		.amdhsa_float_denorm_mode_32 3
		.amdhsa_float_denorm_mode_16_64 3
		.amdhsa_dx10_clamp 1
		.amdhsa_ieee_mode 1
		.amdhsa_fp16_overflow 0
		.amdhsa_tg_split 0
		.amdhsa_exception_fp_ieee_invalid_op 0
		.amdhsa_exception_fp_denorm_src 0
		.amdhsa_exception_fp_ieee_div_zero 0
		.amdhsa_exception_fp_ieee_overflow 0
		.amdhsa_exception_fp_ieee_underflow 0
		.amdhsa_exception_fp_ieee_inexact 0
		.amdhsa_exception_int_div_zero 0
	.end_amdhsa_kernel
	.section	.text._Z20warp_exchange_kernelILj1024ELj4ELj64ELN6hipcub21WarpExchangeAlgorithmE1E18BlockedToStripedOpdEvPT4_S4_,"axG",@progbits,_Z20warp_exchange_kernelILj1024ELj4ELj64ELN6hipcub21WarpExchangeAlgorithmE1E18BlockedToStripedOpdEvPT4_S4_,comdat
.Lfunc_end136:
	.size	_Z20warp_exchange_kernelILj1024ELj4ELj64ELN6hipcub21WarpExchangeAlgorithmE1E18BlockedToStripedOpdEvPT4_S4_, .Lfunc_end136-_Z20warp_exchange_kernelILj1024ELj4ELj64ELN6hipcub21WarpExchangeAlgorithmE1E18BlockedToStripedOpdEvPT4_S4_
                                        ; -- End function
	.section	.AMDGPU.csdata,"",@progbits
; Kernel info:
; codeLenInByte = 520
; NumSgprs: 10
; NumVgprs: 35
; NumAgprs: 0
; TotalNumVgprs: 35
; ScratchSize: 0
; MemoryBound: 0
; FloatMode: 240
; IeeeMode: 1
; LDSByteSize: 0 bytes/workgroup (compile time only)
; SGPRBlocks: 1
; VGPRBlocks: 4
; NumSGPRsForWavesPerEU: 10
; NumVGPRsForWavesPerEU: 35
; AccumOffset: 36
; Occupancy: 8
; WaveLimiterHint : 0
; COMPUTE_PGM_RSRC2:SCRATCH_EN: 0
; COMPUTE_PGM_RSRC2:USER_SGPR: 6
; COMPUTE_PGM_RSRC2:TRAP_HANDLER: 0
; COMPUTE_PGM_RSRC2:TGID_X_EN: 1
; COMPUTE_PGM_RSRC2:TGID_Y_EN: 0
; COMPUTE_PGM_RSRC2:TGID_Z_EN: 0
; COMPUTE_PGM_RSRC2:TIDIG_COMP_CNT: 0
; COMPUTE_PGM_RSRC3_GFX90A:ACCUM_OFFSET: 8
; COMPUTE_PGM_RSRC3_GFX90A:TG_SPLIT: 0
	.section	.text._Z20warp_exchange_kernelILj1024ELj1ELj64ELN6hipcub21WarpExchangeAlgorithmE1E18BlockedToStripedOpdEvPT4_S4_,"axG",@progbits,_Z20warp_exchange_kernelILj1024ELj1ELj64ELN6hipcub21WarpExchangeAlgorithmE1E18BlockedToStripedOpdEvPT4_S4_,comdat
	.protected	_Z20warp_exchange_kernelILj1024ELj1ELj64ELN6hipcub21WarpExchangeAlgorithmE1E18BlockedToStripedOpdEvPT4_S4_ ; -- Begin function _Z20warp_exchange_kernelILj1024ELj1ELj64ELN6hipcub21WarpExchangeAlgorithmE1E18BlockedToStripedOpdEvPT4_S4_
	.globl	_Z20warp_exchange_kernelILj1024ELj1ELj64ELN6hipcub21WarpExchangeAlgorithmE1E18BlockedToStripedOpdEvPT4_S4_
	.p2align	8
	.type	_Z20warp_exchange_kernelILj1024ELj1ELj64ELN6hipcub21WarpExchangeAlgorithmE1E18BlockedToStripedOpdEvPT4_S4_,@function
_Z20warp_exchange_kernelILj1024ELj1ELj64ELN6hipcub21WarpExchangeAlgorithmE1E18BlockedToStripedOpdEvPT4_S4_: ; @_Z20warp_exchange_kernelILj1024ELj1ELj64ELN6hipcub21WarpExchangeAlgorithmE1E18BlockedToStripedOpdEvPT4_S4_
; %bb.0:
	s_load_dwordx4 s[0:3], s[4:5], 0x0
	v_lshlrev_b32_e32 v2, 3, v0
	v_mbcnt_lo_u32_b32 v3, -1, 0
	v_mbcnt_hi_u32_b32 v3, -1, v3
	v_lshlrev_b32_e32 v3, 2, v3
	s_waitcnt lgkmcnt(0)
	global_load_dwordx2 v[0:1], v2, s[0:1]
	s_waitcnt vmcnt(0)
	ds_bpermute_b32 v0, v3, v0
	ds_bpermute_b32 v1, v3, v1
	s_waitcnt lgkmcnt(0)
	global_store_dwordx2 v2, v[0:1], s[2:3]
	s_endpgm
	.section	.rodata,"a",@progbits
	.p2align	6, 0x0
	.amdhsa_kernel _Z20warp_exchange_kernelILj1024ELj1ELj64ELN6hipcub21WarpExchangeAlgorithmE1E18BlockedToStripedOpdEvPT4_S4_
		.amdhsa_group_segment_fixed_size 0
		.amdhsa_private_segment_fixed_size 0
		.amdhsa_kernarg_size 16
		.amdhsa_user_sgpr_count 6
		.amdhsa_user_sgpr_private_segment_buffer 1
		.amdhsa_user_sgpr_dispatch_ptr 0
		.amdhsa_user_sgpr_queue_ptr 0
		.amdhsa_user_sgpr_kernarg_segment_ptr 1
		.amdhsa_user_sgpr_dispatch_id 0
		.amdhsa_user_sgpr_flat_scratch_init 0
		.amdhsa_user_sgpr_kernarg_preload_length 0
		.amdhsa_user_sgpr_kernarg_preload_offset 0
		.amdhsa_user_sgpr_private_segment_size 0
		.amdhsa_uses_dynamic_stack 0
		.amdhsa_system_sgpr_private_segment_wavefront_offset 0
		.amdhsa_system_sgpr_workgroup_id_x 1
		.amdhsa_system_sgpr_workgroup_id_y 0
		.amdhsa_system_sgpr_workgroup_id_z 0
		.amdhsa_system_sgpr_workgroup_info 0
		.amdhsa_system_vgpr_workitem_id 0
		.amdhsa_next_free_vgpr 4
		.amdhsa_next_free_sgpr 6
		.amdhsa_accum_offset 4
		.amdhsa_reserve_vcc 0
		.amdhsa_reserve_flat_scratch 0
		.amdhsa_float_round_mode_32 0
		.amdhsa_float_round_mode_16_64 0
		.amdhsa_float_denorm_mode_32 3
		.amdhsa_float_denorm_mode_16_64 3
		.amdhsa_dx10_clamp 1
		.amdhsa_ieee_mode 1
		.amdhsa_fp16_overflow 0
		.amdhsa_tg_split 0
		.amdhsa_exception_fp_ieee_invalid_op 0
		.amdhsa_exception_fp_denorm_src 0
		.amdhsa_exception_fp_ieee_div_zero 0
		.amdhsa_exception_fp_ieee_overflow 0
		.amdhsa_exception_fp_ieee_underflow 0
		.amdhsa_exception_fp_ieee_inexact 0
		.amdhsa_exception_int_div_zero 0
	.end_amdhsa_kernel
	.section	.text._Z20warp_exchange_kernelILj1024ELj1ELj64ELN6hipcub21WarpExchangeAlgorithmE1E18BlockedToStripedOpdEvPT4_S4_,"axG",@progbits,_Z20warp_exchange_kernelILj1024ELj1ELj64ELN6hipcub21WarpExchangeAlgorithmE1E18BlockedToStripedOpdEvPT4_S4_,comdat
.Lfunc_end137:
	.size	_Z20warp_exchange_kernelILj1024ELj1ELj64ELN6hipcub21WarpExchangeAlgorithmE1E18BlockedToStripedOpdEvPT4_S4_, .Lfunc_end137-_Z20warp_exchange_kernelILj1024ELj1ELj64ELN6hipcub21WarpExchangeAlgorithmE1E18BlockedToStripedOpdEvPT4_S4_
                                        ; -- End function
	.section	.AMDGPU.csdata,"",@progbits
; Kernel info:
; codeLenInByte = 80
; NumSgprs: 10
; NumVgprs: 4
; NumAgprs: 0
; TotalNumVgprs: 4
; ScratchSize: 0
; MemoryBound: 0
; FloatMode: 240
; IeeeMode: 1
; LDSByteSize: 0 bytes/workgroup (compile time only)
; SGPRBlocks: 1
; VGPRBlocks: 0
; NumSGPRsForWavesPerEU: 10
; NumVGPRsForWavesPerEU: 4
; AccumOffset: 4
; Occupancy: 8
; WaveLimiterHint : 0
; COMPUTE_PGM_RSRC2:SCRATCH_EN: 0
; COMPUTE_PGM_RSRC2:USER_SGPR: 6
; COMPUTE_PGM_RSRC2:TRAP_HANDLER: 0
; COMPUTE_PGM_RSRC2:TGID_X_EN: 1
; COMPUTE_PGM_RSRC2:TGID_Y_EN: 0
; COMPUTE_PGM_RSRC2:TGID_Z_EN: 0
; COMPUTE_PGM_RSRC2:TIDIG_COMP_CNT: 0
; COMPUTE_PGM_RSRC3_GFX90A:ACCUM_OFFSET: 0
; COMPUTE_PGM_RSRC3_GFX90A:TG_SPLIT: 0
	.section	.text._Z20warp_exchange_kernelILj1024ELj4ELj32ELN6hipcub21WarpExchangeAlgorithmE1E18BlockedToStripedOpdEvPT4_S4_,"axG",@progbits,_Z20warp_exchange_kernelILj1024ELj4ELj32ELN6hipcub21WarpExchangeAlgorithmE1E18BlockedToStripedOpdEvPT4_S4_,comdat
	.protected	_Z20warp_exchange_kernelILj1024ELj4ELj32ELN6hipcub21WarpExchangeAlgorithmE1E18BlockedToStripedOpdEvPT4_S4_ ; -- Begin function _Z20warp_exchange_kernelILj1024ELj4ELj32ELN6hipcub21WarpExchangeAlgorithmE1E18BlockedToStripedOpdEvPT4_S4_
	.globl	_Z20warp_exchange_kernelILj1024ELj4ELj32ELN6hipcub21WarpExchangeAlgorithmE1E18BlockedToStripedOpdEvPT4_S4_
	.p2align	8
	.type	_Z20warp_exchange_kernelILj1024ELj4ELj32ELN6hipcub21WarpExchangeAlgorithmE1E18BlockedToStripedOpdEvPT4_S4_,@function
_Z20warp_exchange_kernelILj1024ELj4ELj32ELN6hipcub21WarpExchangeAlgorithmE1E18BlockedToStripedOpdEvPT4_S4_: ; @_Z20warp_exchange_kernelILj1024ELj4ELj32ELN6hipcub21WarpExchangeAlgorithmE1E18BlockedToStripedOpdEvPT4_S4_
; %bb.0:
	s_load_dwordx4 s[0:3], s[4:5], 0x0
	v_lshlrev_b32_e32 v8, 5, v0
	v_mbcnt_lo_u32_b32 v9, -1, 0
	v_mbcnt_hi_u32_b32 v9, -1, v9
	v_and_b32_e32 v10, 3, v9
	s_waitcnt lgkmcnt(0)
	global_load_dwordx4 v[0:3], v8, s[0:1]
	global_load_dwordx4 v[4:7], v8, s[0:1] offset:16
	s_movk_i32 s0, 0x180
	v_lshlrev_b32_e32 v11, 2, v9
	v_and_b32_e32 v9, 28, v9
	v_and_or_b32 v9, v11, s0, v9
	v_cmp_eq_u32_e32 vcc, 1, v10
	s_waitcnt vmcnt(1)
	ds_bpermute_b32 v11, v9, v0
	ds_bpermute_b32 v12, v9, v1
	;; [unrolled: 1-line block ×4, first 2 shown]
	ds_bpermute_b32 v19, v9, v0 offset:32
	ds_bpermute_b32 v20, v9, v1 offset:32
	;; [unrolled: 1-line block ×12, first 2 shown]
	s_waitcnt vmcnt(0)
	ds_bpermute_b32 v15, v9, v4
	ds_bpermute_b32 v16, v9, v5
	ds_bpermute_b32 v23, v9, v4 offset:32
	ds_bpermute_b32 v24, v9, v5 offset:32
	;; [unrolled: 1-line block ×6, first 2 shown]
	ds_bpermute_b32 v17, v9, v6
	ds_bpermute_b32 v18, v9, v7
	ds_bpermute_b32 v25, v9, v6 offset:32
	ds_bpermute_b32 v26, v9, v7 offset:32
	;; [unrolled: 1-line block ×6, first 2 shown]
	s_waitcnt lgkmcnt(14)
	v_cndmask_b32_e32 v9, v12, v14, vcc
	v_cndmask_b32_e32 v11, v11, v13, vcc
	;; [unrolled: 1-line block ×8, first 2 shown]
	v_cmp_eq_u32_e32 vcc, 2, v10
	v_cndmask_b32_e32 v2, v11, v15, vcc
	v_cndmask_b32_e32 v3, v9, v16, vcc
	s_waitcnt lgkmcnt(13)
	v_cndmask_b32_e32 v9, v13, v23, vcc
	s_waitcnt lgkmcnt(12)
	;; [unrolled: 2-line block ×6, first 2 shown]
	v_cndmask_b32_e32 v15, v1, v5, vcc
	v_cmp_eq_u32_e32 vcc, 3, v10
	s_waitcnt lgkmcnt(6)
	v_cndmask_b32_e32 v1, v3, v18, vcc
	v_cndmask_b32_e32 v0, v2, v17, vcc
	s_waitcnt lgkmcnt(4)
	v_cndmask_b32_e32 v3, v11, v26, vcc
	v_cndmask_b32_e32 v2, v9, v25, vcc
	;; [unrolled: 3-line block ×4, first 2 shown]
	global_store_dwordx4 v8, v[0:3], s[2:3]
	global_store_dwordx4 v8, v[4:7], s[2:3] offset:16
	s_endpgm
	.section	.rodata,"a",@progbits
	.p2align	6, 0x0
	.amdhsa_kernel _Z20warp_exchange_kernelILj1024ELj4ELj32ELN6hipcub21WarpExchangeAlgorithmE1E18BlockedToStripedOpdEvPT4_S4_
		.amdhsa_group_segment_fixed_size 0
		.amdhsa_private_segment_fixed_size 0
		.amdhsa_kernarg_size 16
		.amdhsa_user_sgpr_count 6
		.amdhsa_user_sgpr_private_segment_buffer 1
		.amdhsa_user_sgpr_dispatch_ptr 0
		.amdhsa_user_sgpr_queue_ptr 0
		.amdhsa_user_sgpr_kernarg_segment_ptr 1
		.amdhsa_user_sgpr_dispatch_id 0
		.amdhsa_user_sgpr_flat_scratch_init 0
		.amdhsa_user_sgpr_kernarg_preload_length 0
		.amdhsa_user_sgpr_kernarg_preload_offset 0
		.amdhsa_user_sgpr_private_segment_size 0
		.amdhsa_uses_dynamic_stack 0
		.amdhsa_system_sgpr_private_segment_wavefront_offset 0
		.amdhsa_system_sgpr_workgroup_id_x 1
		.amdhsa_system_sgpr_workgroup_id_y 0
		.amdhsa_system_sgpr_workgroup_id_z 0
		.amdhsa_system_sgpr_workgroup_info 0
		.amdhsa_system_vgpr_workitem_id 0
		.amdhsa_next_free_vgpr 35
		.amdhsa_next_free_sgpr 6
		.amdhsa_accum_offset 36
		.amdhsa_reserve_vcc 1
		.amdhsa_reserve_flat_scratch 0
		.amdhsa_float_round_mode_32 0
		.amdhsa_float_round_mode_16_64 0
		.amdhsa_float_denorm_mode_32 3
		.amdhsa_float_denorm_mode_16_64 3
		.amdhsa_dx10_clamp 1
		.amdhsa_ieee_mode 1
		.amdhsa_fp16_overflow 0
		.amdhsa_tg_split 0
		.amdhsa_exception_fp_ieee_invalid_op 0
		.amdhsa_exception_fp_denorm_src 0
		.amdhsa_exception_fp_ieee_div_zero 0
		.amdhsa_exception_fp_ieee_overflow 0
		.amdhsa_exception_fp_ieee_underflow 0
		.amdhsa_exception_fp_ieee_inexact 0
		.amdhsa_exception_int_div_zero 0
	.end_amdhsa_kernel
	.section	.text._Z20warp_exchange_kernelILj1024ELj4ELj32ELN6hipcub21WarpExchangeAlgorithmE1E18BlockedToStripedOpdEvPT4_S4_,"axG",@progbits,_Z20warp_exchange_kernelILj1024ELj4ELj32ELN6hipcub21WarpExchangeAlgorithmE1E18BlockedToStripedOpdEvPT4_S4_,comdat
.Lfunc_end138:
	.size	_Z20warp_exchange_kernelILj1024ELj4ELj32ELN6hipcub21WarpExchangeAlgorithmE1E18BlockedToStripedOpdEvPT4_S4_, .Lfunc_end138-_Z20warp_exchange_kernelILj1024ELj4ELj32ELN6hipcub21WarpExchangeAlgorithmE1E18BlockedToStripedOpdEvPT4_S4_
                                        ; -- End function
	.section	.AMDGPU.csdata,"",@progbits
; Kernel info:
; codeLenInByte = 508
; NumSgprs: 10
; NumVgprs: 35
; NumAgprs: 0
; TotalNumVgprs: 35
; ScratchSize: 0
; MemoryBound: 0
; FloatMode: 240
; IeeeMode: 1
; LDSByteSize: 0 bytes/workgroup (compile time only)
; SGPRBlocks: 1
; VGPRBlocks: 4
; NumSGPRsForWavesPerEU: 10
; NumVGPRsForWavesPerEU: 35
; AccumOffset: 36
; Occupancy: 8
; WaveLimiterHint : 0
; COMPUTE_PGM_RSRC2:SCRATCH_EN: 0
; COMPUTE_PGM_RSRC2:USER_SGPR: 6
; COMPUTE_PGM_RSRC2:TRAP_HANDLER: 0
; COMPUTE_PGM_RSRC2:TGID_X_EN: 1
; COMPUTE_PGM_RSRC2:TGID_Y_EN: 0
; COMPUTE_PGM_RSRC2:TGID_Z_EN: 0
; COMPUTE_PGM_RSRC2:TIDIG_COMP_CNT: 0
; COMPUTE_PGM_RSRC3_GFX90A:ACCUM_OFFSET: 8
; COMPUTE_PGM_RSRC3_GFX90A:TG_SPLIT: 0
	.section	.text._Z20warp_exchange_kernelILj1024ELj1ELj32ELN6hipcub21WarpExchangeAlgorithmE1E18BlockedToStripedOpdEvPT4_S4_,"axG",@progbits,_Z20warp_exchange_kernelILj1024ELj1ELj32ELN6hipcub21WarpExchangeAlgorithmE1E18BlockedToStripedOpdEvPT4_S4_,comdat
	.protected	_Z20warp_exchange_kernelILj1024ELj1ELj32ELN6hipcub21WarpExchangeAlgorithmE1E18BlockedToStripedOpdEvPT4_S4_ ; -- Begin function _Z20warp_exchange_kernelILj1024ELj1ELj32ELN6hipcub21WarpExchangeAlgorithmE1E18BlockedToStripedOpdEvPT4_S4_
	.globl	_Z20warp_exchange_kernelILj1024ELj1ELj32ELN6hipcub21WarpExchangeAlgorithmE1E18BlockedToStripedOpdEvPT4_S4_
	.p2align	8
	.type	_Z20warp_exchange_kernelILj1024ELj1ELj32ELN6hipcub21WarpExchangeAlgorithmE1E18BlockedToStripedOpdEvPT4_S4_,@function
_Z20warp_exchange_kernelILj1024ELj1ELj32ELN6hipcub21WarpExchangeAlgorithmE1E18BlockedToStripedOpdEvPT4_S4_: ; @_Z20warp_exchange_kernelILj1024ELj1ELj32ELN6hipcub21WarpExchangeAlgorithmE1E18BlockedToStripedOpdEvPT4_S4_
; %bb.0:
	s_load_dwordx4 s[0:3], s[4:5], 0x0
	v_lshlrev_b32_e32 v2, 3, v0
	v_mbcnt_lo_u32_b32 v3, -1, 0
	v_mbcnt_hi_u32_b32 v3, -1, v3
	v_lshlrev_b32_e32 v3, 2, v3
	s_waitcnt lgkmcnt(0)
	global_load_dwordx2 v[0:1], v2, s[0:1]
	s_waitcnt vmcnt(0)
	ds_bpermute_b32 v0, v3, v0
	ds_bpermute_b32 v1, v3, v1
	s_waitcnt lgkmcnt(0)
	global_store_dwordx2 v2, v[0:1], s[2:3]
	s_endpgm
	.section	.rodata,"a",@progbits
	.p2align	6, 0x0
	.amdhsa_kernel _Z20warp_exchange_kernelILj1024ELj1ELj32ELN6hipcub21WarpExchangeAlgorithmE1E18BlockedToStripedOpdEvPT4_S4_
		.amdhsa_group_segment_fixed_size 0
		.amdhsa_private_segment_fixed_size 0
		.amdhsa_kernarg_size 16
		.amdhsa_user_sgpr_count 6
		.amdhsa_user_sgpr_private_segment_buffer 1
		.amdhsa_user_sgpr_dispatch_ptr 0
		.amdhsa_user_sgpr_queue_ptr 0
		.amdhsa_user_sgpr_kernarg_segment_ptr 1
		.amdhsa_user_sgpr_dispatch_id 0
		.amdhsa_user_sgpr_flat_scratch_init 0
		.amdhsa_user_sgpr_kernarg_preload_length 0
		.amdhsa_user_sgpr_kernarg_preload_offset 0
		.amdhsa_user_sgpr_private_segment_size 0
		.amdhsa_uses_dynamic_stack 0
		.amdhsa_system_sgpr_private_segment_wavefront_offset 0
		.amdhsa_system_sgpr_workgroup_id_x 1
		.amdhsa_system_sgpr_workgroup_id_y 0
		.amdhsa_system_sgpr_workgroup_id_z 0
		.amdhsa_system_sgpr_workgroup_info 0
		.amdhsa_system_vgpr_workitem_id 0
		.amdhsa_next_free_vgpr 4
		.amdhsa_next_free_sgpr 6
		.amdhsa_accum_offset 4
		.amdhsa_reserve_vcc 0
		.amdhsa_reserve_flat_scratch 0
		.amdhsa_float_round_mode_32 0
		.amdhsa_float_round_mode_16_64 0
		.amdhsa_float_denorm_mode_32 3
		.amdhsa_float_denorm_mode_16_64 3
		.amdhsa_dx10_clamp 1
		.amdhsa_ieee_mode 1
		.amdhsa_fp16_overflow 0
		.amdhsa_tg_split 0
		.amdhsa_exception_fp_ieee_invalid_op 0
		.amdhsa_exception_fp_denorm_src 0
		.amdhsa_exception_fp_ieee_div_zero 0
		.amdhsa_exception_fp_ieee_overflow 0
		.amdhsa_exception_fp_ieee_underflow 0
		.amdhsa_exception_fp_ieee_inexact 0
		.amdhsa_exception_int_div_zero 0
	.end_amdhsa_kernel
	.section	.text._Z20warp_exchange_kernelILj1024ELj1ELj32ELN6hipcub21WarpExchangeAlgorithmE1E18BlockedToStripedOpdEvPT4_S4_,"axG",@progbits,_Z20warp_exchange_kernelILj1024ELj1ELj32ELN6hipcub21WarpExchangeAlgorithmE1E18BlockedToStripedOpdEvPT4_S4_,comdat
.Lfunc_end139:
	.size	_Z20warp_exchange_kernelILj1024ELj1ELj32ELN6hipcub21WarpExchangeAlgorithmE1E18BlockedToStripedOpdEvPT4_S4_, .Lfunc_end139-_Z20warp_exchange_kernelILj1024ELj1ELj32ELN6hipcub21WarpExchangeAlgorithmE1E18BlockedToStripedOpdEvPT4_S4_
                                        ; -- End function
	.section	.AMDGPU.csdata,"",@progbits
; Kernel info:
; codeLenInByte = 80
; NumSgprs: 10
; NumVgprs: 4
; NumAgprs: 0
; TotalNumVgprs: 4
; ScratchSize: 0
; MemoryBound: 0
; FloatMode: 240
; IeeeMode: 1
; LDSByteSize: 0 bytes/workgroup (compile time only)
; SGPRBlocks: 1
; VGPRBlocks: 0
; NumSGPRsForWavesPerEU: 10
; NumVGPRsForWavesPerEU: 4
; AccumOffset: 4
; Occupancy: 8
; WaveLimiterHint : 0
; COMPUTE_PGM_RSRC2:SCRATCH_EN: 0
; COMPUTE_PGM_RSRC2:USER_SGPR: 6
; COMPUTE_PGM_RSRC2:TRAP_HANDLER: 0
; COMPUTE_PGM_RSRC2:TGID_X_EN: 1
; COMPUTE_PGM_RSRC2:TGID_Y_EN: 0
; COMPUTE_PGM_RSRC2:TGID_Z_EN: 0
; COMPUTE_PGM_RSRC2:TIDIG_COMP_CNT: 0
; COMPUTE_PGM_RSRC3_GFX90A:ACCUM_OFFSET: 0
; COMPUTE_PGM_RSRC3_GFX90A:TG_SPLIT: 0
	.section	.text._Z20warp_exchange_kernelILj1024ELj4ELj16ELN6hipcub21WarpExchangeAlgorithmE1E18BlockedToStripedOpdEvPT4_S4_,"axG",@progbits,_Z20warp_exchange_kernelILj1024ELj4ELj16ELN6hipcub21WarpExchangeAlgorithmE1E18BlockedToStripedOpdEvPT4_S4_,comdat
	.protected	_Z20warp_exchange_kernelILj1024ELj4ELj16ELN6hipcub21WarpExchangeAlgorithmE1E18BlockedToStripedOpdEvPT4_S4_ ; -- Begin function _Z20warp_exchange_kernelILj1024ELj4ELj16ELN6hipcub21WarpExchangeAlgorithmE1E18BlockedToStripedOpdEvPT4_S4_
	.globl	_Z20warp_exchange_kernelILj1024ELj4ELj16ELN6hipcub21WarpExchangeAlgorithmE1E18BlockedToStripedOpdEvPT4_S4_
	.p2align	8
	.type	_Z20warp_exchange_kernelILj1024ELj4ELj16ELN6hipcub21WarpExchangeAlgorithmE1E18BlockedToStripedOpdEvPT4_S4_,@function
_Z20warp_exchange_kernelILj1024ELj4ELj16ELN6hipcub21WarpExchangeAlgorithmE1E18BlockedToStripedOpdEvPT4_S4_: ; @_Z20warp_exchange_kernelILj1024ELj4ELj16ELN6hipcub21WarpExchangeAlgorithmE1E18BlockedToStripedOpdEvPT4_S4_
; %bb.0:
	s_load_dwordx4 s[0:3], s[4:5], 0x0
	v_lshlrev_b32_e32 v8, 5, v0
	v_mbcnt_lo_u32_b32 v9, -1, 0
	v_mbcnt_hi_u32_b32 v9, -1, v9
	v_and_b32_e32 v10, 3, v9
	s_waitcnt lgkmcnt(0)
	global_load_dwordx4 v[0:3], v8, s[0:1]
	global_load_dwordx4 v[4:7], v8, s[0:1] offset:16
	s_movk_i32 s0, 0x1c0
	v_lshlrev_b32_e32 v11, 2, v9
	v_and_b32_e32 v9, 12, v9
	v_and_or_b32 v9, v11, s0, v9
	v_cmp_eq_u32_e32 vcc, 1, v10
	s_waitcnt vmcnt(1)
	ds_bpermute_b32 v11, v9, v0
	ds_bpermute_b32 v12, v9, v1
	;; [unrolled: 1-line block ×4, first 2 shown]
	ds_bpermute_b32 v19, v9, v0 offset:16
	ds_bpermute_b32 v20, v9, v1 offset:16
	;; [unrolled: 1-line block ×12, first 2 shown]
	s_waitcnt vmcnt(0)
	ds_bpermute_b32 v15, v9, v4
	ds_bpermute_b32 v16, v9, v5
	ds_bpermute_b32 v23, v9, v4 offset:16
	ds_bpermute_b32 v24, v9, v5 offset:16
	;; [unrolled: 1-line block ×6, first 2 shown]
	ds_bpermute_b32 v17, v9, v6
	ds_bpermute_b32 v18, v9, v7
	ds_bpermute_b32 v25, v9, v6 offset:16
	ds_bpermute_b32 v26, v9, v7 offset:16
	;; [unrolled: 1-line block ×6, first 2 shown]
	s_waitcnt lgkmcnt(14)
	v_cndmask_b32_e32 v9, v12, v14, vcc
	v_cndmask_b32_e32 v11, v11, v13, vcc
	v_cndmask_b32_e32 v12, v20, v22, vcc
	v_cndmask_b32_e32 v13, v19, v21, vcc
	v_cndmask_b32_e32 v14, v28, v30, vcc
	v_cndmask_b32_e32 v19, v27, v29, vcc
	v_cndmask_b32_e32 v1, v1, v3, vcc
	v_cndmask_b32_e32 v0, v0, v2, vcc
	v_cmp_eq_u32_e32 vcc, 2, v10
	v_cndmask_b32_e32 v2, v11, v15, vcc
	v_cndmask_b32_e32 v3, v9, v16, vcc
	s_waitcnt lgkmcnt(13)
	v_cndmask_b32_e32 v9, v13, v23, vcc
	s_waitcnt lgkmcnt(12)
	;; [unrolled: 2-line block ×6, first 2 shown]
	v_cndmask_b32_e32 v15, v1, v5, vcc
	v_cmp_eq_u32_e32 vcc, 3, v10
	s_waitcnt lgkmcnt(6)
	v_cndmask_b32_e32 v1, v3, v18, vcc
	v_cndmask_b32_e32 v0, v2, v17, vcc
	s_waitcnt lgkmcnt(4)
	v_cndmask_b32_e32 v3, v11, v26, vcc
	v_cndmask_b32_e32 v2, v9, v25, vcc
	;; [unrolled: 3-line block ×4, first 2 shown]
	global_store_dwordx4 v8, v[0:3], s[2:3]
	global_store_dwordx4 v8, v[4:7], s[2:3] offset:16
	s_endpgm
	.section	.rodata,"a",@progbits
	.p2align	6, 0x0
	.amdhsa_kernel _Z20warp_exchange_kernelILj1024ELj4ELj16ELN6hipcub21WarpExchangeAlgorithmE1E18BlockedToStripedOpdEvPT4_S4_
		.amdhsa_group_segment_fixed_size 0
		.amdhsa_private_segment_fixed_size 0
		.amdhsa_kernarg_size 16
		.amdhsa_user_sgpr_count 6
		.amdhsa_user_sgpr_private_segment_buffer 1
		.amdhsa_user_sgpr_dispatch_ptr 0
		.amdhsa_user_sgpr_queue_ptr 0
		.amdhsa_user_sgpr_kernarg_segment_ptr 1
		.amdhsa_user_sgpr_dispatch_id 0
		.amdhsa_user_sgpr_flat_scratch_init 0
		.amdhsa_user_sgpr_kernarg_preload_length 0
		.amdhsa_user_sgpr_kernarg_preload_offset 0
		.amdhsa_user_sgpr_private_segment_size 0
		.amdhsa_uses_dynamic_stack 0
		.amdhsa_system_sgpr_private_segment_wavefront_offset 0
		.amdhsa_system_sgpr_workgroup_id_x 1
		.amdhsa_system_sgpr_workgroup_id_y 0
		.amdhsa_system_sgpr_workgroup_id_z 0
		.amdhsa_system_sgpr_workgroup_info 0
		.amdhsa_system_vgpr_workitem_id 0
		.amdhsa_next_free_vgpr 35
		.amdhsa_next_free_sgpr 6
		.amdhsa_accum_offset 36
		.amdhsa_reserve_vcc 1
		.amdhsa_reserve_flat_scratch 0
		.amdhsa_float_round_mode_32 0
		.amdhsa_float_round_mode_16_64 0
		.amdhsa_float_denorm_mode_32 3
		.amdhsa_float_denorm_mode_16_64 3
		.amdhsa_dx10_clamp 1
		.amdhsa_ieee_mode 1
		.amdhsa_fp16_overflow 0
		.amdhsa_tg_split 0
		.amdhsa_exception_fp_ieee_invalid_op 0
		.amdhsa_exception_fp_denorm_src 0
		.amdhsa_exception_fp_ieee_div_zero 0
		.amdhsa_exception_fp_ieee_overflow 0
		.amdhsa_exception_fp_ieee_underflow 0
		.amdhsa_exception_fp_ieee_inexact 0
		.amdhsa_exception_int_div_zero 0
	.end_amdhsa_kernel
	.section	.text._Z20warp_exchange_kernelILj1024ELj4ELj16ELN6hipcub21WarpExchangeAlgorithmE1E18BlockedToStripedOpdEvPT4_S4_,"axG",@progbits,_Z20warp_exchange_kernelILj1024ELj4ELj16ELN6hipcub21WarpExchangeAlgorithmE1E18BlockedToStripedOpdEvPT4_S4_,comdat
.Lfunc_end140:
	.size	_Z20warp_exchange_kernelILj1024ELj4ELj16ELN6hipcub21WarpExchangeAlgorithmE1E18BlockedToStripedOpdEvPT4_S4_, .Lfunc_end140-_Z20warp_exchange_kernelILj1024ELj4ELj16ELN6hipcub21WarpExchangeAlgorithmE1E18BlockedToStripedOpdEvPT4_S4_
                                        ; -- End function
	.section	.AMDGPU.csdata,"",@progbits
; Kernel info:
; codeLenInByte = 508
; NumSgprs: 10
; NumVgprs: 35
; NumAgprs: 0
; TotalNumVgprs: 35
; ScratchSize: 0
; MemoryBound: 0
; FloatMode: 240
; IeeeMode: 1
; LDSByteSize: 0 bytes/workgroup (compile time only)
; SGPRBlocks: 1
; VGPRBlocks: 4
; NumSGPRsForWavesPerEU: 10
; NumVGPRsForWavesPerEU: 35
; AccumOffset: 36
; Occupancy: 8
; WaveLimiterHint : 0
; COMPUTE_PGM_RSRC2:SCRATCH_EN: 0
; COMPUTE_PGM_RSRC2:USER_SGPR: 6
; COMPUTE_PGM_RSRC2:TRAP_HANDLER: 0
; COMPUTE_PGM_RSRC2:TGID_X_EN: 1
; COMPUTE_PGM_RSRC2:TGID_Y_EN: 0
; COMPUTE_PGM_RSRC2:TGID_Z_EN: 0
; COMPUTE_PGM_RSRC2:TIDIG_COMP_CNT: 0
; COMPUTE_PGM_RSRC3_GFX90A:ACCUM_OFFSET: 8
; COMPUTE_PGM_RSRC3_GFX90A:TG_SPLIT: 0
	.section	.text._Z20warp_exchange_kernelILj1024ELj1ELj16ELN6hipcub21WarpExchangeAlgorithmE1E18BlockedToStripedOpdEvPT4_S4_,"axG",@progbits,_Z20warp_exchange_kernelILj1024ELj1ELj16ELN6hipcub21WarpExchangeAlgorithmE1E18BlockedToStripedOpdEvPT4_S4_,comdat
	.protected	_Z20warp_exchange_kernelILj1024ELj1ELj16ELN6hipcub21WarpExchangeAlgorithmE1E18BlockedToStripedOpdEvPT4_S4_ ; -- Begin function _Z20warp_exchange_kernelILj1024ELj1ELj16ELN6hipcub21WarpExchangeAlgorithmE1E18BlockedToStripedOpdEvPT4_S4_
	.globl	_Z20warp_exchange_kernelILj1024ELj1ELj16ELN6hipcub21WarpExchangeAlgorithmE1E18BlockedToStripedOpdEvPT4_S4_
	.p2align	8
	.type	_Z20warp_exchange_kernelILj1024ELj1ELj16ELN6hipcub21WarpExchangeAlgorithmE1E18BlockedToStripedOpdEvPT4_S4_,@function
_Z20warp_exchange_kernelILj1024ELj1ELj16ELN6hipcub21WarpExchangeAlgorithmE1E18BlockedToStripedOpdEvPT4_S4_: ; @_Z20warp_exchange_kernelILj1024ELj1ELj16ELN6hipcub21WarpExchangeAlgorithmE1E18BlockedToStripedOpdEvPT4_S4_
; %bb.0:
	s_load_dwordx4 s[0:3], s[4:5], 0x0
	v_lshlrev_b32_e32 v2, 3, v0
	v_mbcnt_lo_u32_b32 v3, -1, 0
	v_mbcnt_hi_u32_b32 v3, -1, v3
	v_lshlrev_b32_e32 v3, 2, v3
	s_waitcnt lgkmcnt(0)
	global_load_dwordx2 v[0:1], v2, s[0:1]
	s_waitcnt vmcnt(0)
	ds_bpermute_b32 v0, v3, v0
	ds_bpermute_b32 v1, v3, v1
	s_waitcnt lgkmcnt(0)
	global_store_dwordx2 v2, v[0:1], s[2:3]
	s_endpgm
	.section	.rodata,"a",@progbits
	.p2align	6, 0x0
	.amdhsa_kernel _Z20warp_exchange_kernelILj1024ELj1ELj16ELN6hipcub21WarpExchangeAlgorithmE1E18BlockedToStripedOpdEvPT4_S4_
		.amdhsa_group_segment_fixed_size 0
		.amdhsa_private_segment_fixed_size 0
		.amdhsa_kernarg_size 16
		.amdhsa_user_sgpr_count 6
		.amdhsa_user_sgpr_private_segment_buffer 1
		.amdhsa_user_sgpr_dispatch_ptr 0
		.amdhsa_user_sgpr_queue_ptr 0
		.amdhsa_user_sgpr_kernarg_segment_ptr 1
		.amdhsa_user_sgpr_dispatch_id 0
		.amdhsa_user_sgpr_flat_scratch_init 0
		.amdhsa_user_sgpr_kernarg_preload_length 0
		.amdhsa_user_sgpr_kernarg_preload_offset 0
		.amdhsa_user_sgpr_private_segment_size 0
		.amdhsa_uses_dynamic_stack 0
		.amdhsa_system_sgpr_private_segment_wavefront_offset 0
		.amdhsa_system_sgpr_workgroup_id_x 1
		.amdhsa_system_sgpr_workgroup_id_y 0
		.amdhsa_system_sgpr_workgroup_id_z 0
		.amdhsa_system_sgpr_workgroup_info 0
		.amdhsa_system_vgpr_workitem_id 0
		.amdhsa_next_free_vgpr 4
		.amdhsa_next_free_sgpr 6
		.amdhsa_accum_offset 4
		.amdhsa_reserve_vcc 0
		.amdhsa_reserve_flat_scratch 0
		.amdhsa_float_round_mode_32 0
		.amdhsa_float_round_mode_16_64 0
		.amdhsa_float_denorm_mode_32 3
		.amdhsa_float_denorm_mode_16_64 3
		.amdhsa_dx10_clamp 1
		.amdhsa_ieee_mode 1
		.amdhsa_fp16_overflow 0
		.amdhsa_tg_split 0
		.amdhsa_exception_fp_ieee_invalid_op 0
		.amdhsa_exception_fp_denorm_src 0
		.amdhsa_exception_fp_ieee_div_zero 0
		.amdhsa_exception_fp_ieee_overflow 0
		.amdhsa_exception_fp_ieee_underflow 0
		.amdhsa_exception_fp_ieee_inexact 0
		.amdhsa_exception_int_div_zero 0
	.end_amdhsa_kernel
	.section	.text._Z20warp_exchange_kernelILj1024ELj1ELj16ELN6hipcub21WarpExchangeAlgorithmE1E18BlockedToStripedOpdEvPT4_S4_,"axG",@progbits,_Z20warp_exchange_kernelILj1024ELj1ELj16ELN6hipcub21WarpExchangeAlgorithmE1E18BlockedToStripedOpdEvPT4_S4_,comdat
.Lfunc_end141:
	.size	_Z20warp_exchange_kernelILj1024ELj1ELj16ELN6hipcub21WarpExchangeAlgorithmE1E18BlockedToStripedOpdEvPT4_S4_, .Lfunc_end141-_Z20warp_exchange_kernelILj1024ELj1ELj16ELN6hipcub21WarpExchangeAlgorithmE1E18BlockedToStripedOpdEvPT4_S4_
                                        ; -- End function
	.section	.AMDGPU.csdata,"",@progbits
; Kernel info:
; codeLenInByte = 80
; NumSgprs: 10
; NumVgprs: 4
; NumAgprs: 0
; TotalNumVgprs: 4
; ScratchSize: 0
; MemoryBound: 0
; FloatMode: 240
; IeeeMode: 1
; LDSByteSize: 0 bytes/workgroup (compile time only)
; SGPRBlocks: 1
; VGPRBlocks: 0
; NumSGPRsForWavesPerEU: 10
; NumVGPRsForWavesPerEU: 4
; AccumOffset: 4
; Occupancy: 8
; WaveLimiterHint : 0
; COMPUTE_PGM_RSRC2:SCRATCH_EN: 0
; COMPUTE_PGM_RSRC2:USER_SGPR: 6
; COMPUTE_PGM_RSRC2:TRAP_HANDLER: 0
; COMPUTE_PGM_RSRC2:TGID_X_EN: 1
; COMPUTE_PGM_RSRC2:TGID_Y_EN: 0
; COMPUTE_PGM_RSRC2:TGID_Z_EN: 0
; COMPUTE_PGM_RSRC2:TIDIG_COMP_CNT: 0
; COMPUTE_PGM_RSRC3_GFX90A:ACCUM_OFFSET: 0
; COMPUTE_PGM_RSRC3_GFX90A:TG_SPLIT: 0
	.section	.text._Z20warp_exchange_kernelILj1024ELj4ELj8ELN6hipcub21WarpExchangeAlgorithmE1E18BlockedToStripedOpdEvPT4_S4_,"axG",@progbits,_Z20warp_exchange_kernelILj1024ELj4ELj8ELN6hipcub21WarpExchangeAlgorithmE1E18BlockedToStripedOpdEvPT4_S4_,comdat
	.protected	_Z20warp_exchange_kernelILj1024ELj4ELj8ELN6hipcub21WarpExchangeAlgorithmE1E18BlockedToStripedOpdEvPT4_S4_ ; -- Begin function _Z20warp_exchange_kernelILj1024ELj4ELj8ELN6hipcub21WarpExchangeAlgorithmE1E18BlockedToStripedOpdEvPT4_S4_
	.globl	_Z20warp_exchange_kernelILj1024ELj4ELj8ELN6hipcub21WarpExchangeAlgorithmE1E18BlockedToStripedOpdEvPT4_S4_
	.p2align	8
	.type	_Z20warp_exchange_kernelILj1024ELj4ELj8ELN6hipcub21WarpExchangeAlgorithmE1E18BlockedToStripedOpdEvPT4_S4_,@function
_Z20warp_exchange_kernelILj1024ELj4ELj8ELN6hipcub21WarpExchangeAlgorithmE1E18BlockedToStripedOpdEvPT4_S4_: ; @_Z20warp_exchange_kernelILj1024ELj4ELj8ELN6hipcub21WarpExchangeAlgorithmE1E18BlockedToStripedOpdEvPT4_S4_
; %bb.0:
	s_load_dwordx4 s[0:3], s[4:5], 0x0
	v_lshlrev_b32_e32 v8, 5, v0
	v_mbcnt_lo_u32_b32 v9, -1, 0
	v_mbcnt_hi_u32_b32 v9, -1, v9
	v_and_b32_e32 v10, 3, v9
	s_waitcnt lgkmcnt(0)
	global_load_dwordx4 v[0:3], v8, s[0:1]
	global_load_dwordx4 v[4:7], v8, s[0:1] offset:16
	s_movk_i32 s0, 0x1e0
	v_lshlrev_b32_e32 v11, 2, v9
	v_and_b32_e32 v9, 4, v9
	v_and_or_b32 v9, v11, s0, v9
	v_cmp_eq_u32_e32 vcc, 1, v10
	s_waitcnt vmcnt(1)
	ds_bpermute_b32 v11, v9, v0
	ds_bpermute_b32 v12, v9, v1
	;; [unrolled: 1-line block ×4, first 2 shown]
	ds_bpermute_b32 v19, v9, v0 offset:8
	ds_bpermute_b32 v20, v9, v1 offset:8
	;; [unrolled: 1-line block ×12, first 2 shown]
	s_waitcnt vmcnt(0)
	ds_bpermute_b32 v15, v9, v4
	ds_bpermute_b32 v16, v9, v5
	ds_bpermute_b32 v23, v9, v4 offset:8
	ds_bpermute_b32 v24, v9, v5 offset:8
	ds_bpermute_b32 v31, v9, v4 offset:16
	ds_bpermute_b32 v32, v9, v5 offset:16
	ds_bpermute_b32 v4, v9, v4 offset:24
	ds_bpermute_b32 v5, v9, v5 offset:24
	ds_bpermute_b32 v17, v9, v6
	ds_bpermute_b32 v18, v9, v7
	ds_bpermute_b32 v25, v9, v6 offset:8
	ds_bpermute_b32 v26, v9, v7 offset:8
	;; [unrolled: 1-line block ×6, first 2 shown]
	s_waitcnt lgkmcnt(14)
	v_cndmask_b32_e32 v9, v12, v14, vcc
	v_cndmask_b32_e32 v11, v11, v13, vcc
	;; [unrolled: 1-line block ×8, first 2 shown]
	v_cmp_eq_u32_e32 vcc, 2, v10
	v_cndmask_b32_e32 v2, v11, v15, vcc
	v_cndmask_b32_e32 v3, v9, v16, vcc
	s_waitcnt lgkmcnt(13)
	v_cndmask_b32_e32 v9, v13, v23, vcc
	s_waitcnt lgkmcnt(12)
	v_cndmask_b32_e32 v11, v12, v24, vcc
	s_waitcnt lgkmcnt(11)
	v_cndmask_b32_e32 v12, v19, v31, vcc
	s_waitcnt lgkmcnt(10)
	v_cndmask_b32_e32 v13, v14, v32, vcc
	s_waitcnt lgkmcnt(9)
	v_cndmask_b32_e32 v14, v0, v4, vcc
	s_waitcnt lgkmcnt(8)
	v_cndmask_b32_e32 v15, v1, v5, vcc
	v_cmp_eq_u32_e32 vcc, 3, v10
	s_waitcnt lgkmcnt(6)
	v_cndmask_b32_e32 v1, v3, v18, vcc
	v_cndmask_b32_e32 v0, v2, v17, vcc
	s_waitcnt lgkmcnt(4)
	v_cndmask_b32_e32 v3, v11, v26, vcc
	v_cndmask_b32_e32 v2, v9, v25, vcc
	;; [unrolled: 3-line block ×4, first 2 shown]
	global_store_dwordx4 v8, v[0:3], s[2:3]
	global_store_dwordx4 v8, v[4:7], s[2:3] offset:16
	s_endpgm
	.section	.rodata,"a",@progbits
	.p2align	6, 0x0
	.amdhsa_kernel _Z20warp_exchange_kernelILj1024ELj4ELj8ELN6hipcub21WarpExchangeAlgorithmE1E18BlockedToStripedOpdEvPT4_S4_
		.amdhsa_group_segment_fixed_size 0
		.amdhsa_private_segment_fixed_size 0
		.amdhsa_kernarg_size 16
		.amdhsa_user_sgpr_count 6
		.amdhsa_user_sgpr_private_segment_buffer 1
		.amdhsa_user_sgpr_dispatch_ptr 0
		.amdhsa_user_sgpr_queue_ptr 0
		.amdhsa_user_sgpr_kernarg_segment_ptr 1
		.amdhsa_user_sgpr_dispatch_id 0
		.amdhsa_user_sgpr_flat_scratch_init 0
		.amdhsa_user_sgpr_kernarg_preload_length 0
		.amdhsa_user_sgpr_kernarg_preload_offset 0
		.amdhsa_user_sgpr_private_segment_size 0
		.amdhsa_uses_dynamic_stack 0
		.amdhsa_system_sgpr_private_segment_wavefront_offset 0
		.amdhsa_system_sgpr_workgroup_id_x 1
		.amdhsa_system_sgpr_workgroup_id_y 0
		.amdhsa_system_sgpr_workgroup_id_z 0
		.amdhsa_system_sgpr_workgroup_info 0
		.amdhsa_system_vgpr_workitem_id 0
		.amdhsa_next_free_vgpr 35
		.amdhsa_next_free_sgpr 6
		.amdhsa_accum_offset 36
		.amdhsa_reserve_vcc 1
		.amdhsa_reserve_flat_scratch 0
		.amdhsa_float_round_mode_32 0
		.amdhsa_float_round_mode_16_64 0
		.amdhsa_float_denorm_mode_32 3
		.amdhsa_float_denorm_mode_16_64 3
		.amdhsa_dx10_clamp 1
		.amdhsa_ieee_mode 1
		.amdhsa_fp16_overflow 0
		.amdhsa_tg_split 0
		.amdhsa_exception_fp_ieee_invalid_op 0
		.amdhsa_exception_fp_denorm_src 0
		.amdhsa_exception_fp_ieee_div_zero 0
		.amdhsa_exception_fp_ieee_overflow 0
		.amdhsa_exception_fp_ieee_underflow 0
		.amdhsa_exception_fp_ieee_inexact 0
		.amdhsa_exception_int_div_zero 0
	.end_amdhsa_kernel
	.section	.text._Z20warp_exchange_kernelILj1024ELj4ELj8ELN6hipcub21WarpExchangeAlgorithmE1E18BlockedToStripedOpdEvPT4_S4_,"axG",@progbits,_Z20warp_exchange_kernelILj1024ELj4ELj8ELN6hipcub21WarpExchangeAlgorithmE1E18BlockedToStripedOpdEvPT4_S4_,comdat
.Lfunc_end142:
	.size	_Z20warp_exchange_kernelILj1024ELj4ELj8ELN6hipcub21WarpExchangeAlgorithmE1E18BlockedToStripedOpdEvPT4_S4_, .Lfunc_end142-_Z20warp_exchange_kernelILj1024ELj4ELj8ELN6hipcub21WarpExchangeAlgorithmE1E18BlockedToStripedOpdEvPT4_S4_
                                        ; -- End function
	.section	.AMDGPU.csdata,"",@progbits
; Kernel info:
; codeLenInByte = 508
; NumSgprs: 10
; NumVgprs: 35
; NumAgprs: 0
; TotalNumVgprs: 35
; ScratchSize: 0
; MemoryBound: 0
; FloatMode: 240
; IeeeMode: 1
; LDSByteSize: 0 bytes/workgroup (compile time only)
; SGPRBlocks: 1
; VGPRBlocks: 4
; NumSGPRsForWavesPerEU: 10
; NumVGPRsForWavesPerEU: 35
; AccumOffset: 36
; Occupancy: 8
; WaveLimiterHint : 0
; COMPUTE_PGM_RSRC2:SCRATCH_EN: 0
; COMPUTE_PGM_RSRC2:USER_SGPR: 6
; COMPUTE_PGM_RSRC2:TRAP_HANDLER: 0
; COMPUTE_PGM_RSRC2:TGID_X_EN: 1
; COMPUTE_PGM_RSRC2:TGID_Y_EN: 0
; COMPUTE_PGM_RSRC2:TGID_Z_EN: 0
; COMPUTE_PGM_RSRC2:TIDIG_COMP_CNT: 0
; COMPUTE_PGM_RSRC3_GFX90A:ACCUM_OFFSET: 8
; COMPUTE_PGM_RSRC3_GFX90A:TG_SPLIT: 0
	.section	.text._Z20warp_exchange_kernelILj1024ELj1ELj8ELN6hipcub21WarpExchangeAlgorithmE1E18BlockedToStripedOpdEvPT4_S4_,"axG",@progbits,_Z20warp_exchange_kernelILj1024ELj1ELj8ELN6hipcub21WarpExchangeAlgorithmE1E18BlockedToStripedOpdEvPT4_S4_,comdat
	.protected	_Z20warp_exchange_kernelILj1024ELj1ELj8ELN6hipcub21WarpExchangeAlgorithmE1E18BlockedToStripedOpdEvPT4_S4_ ; -- Begin function _Z20warp_exchange_kernelILj1024ELj1ELj8ELN6hipcub21WarpExchangeAlgorithmE1E18BlockedToStripedOpdEvPT4_S4_
	.globl	_Z20warp_exchange_kernelILj1024ELj1ELj8ELN6hipcub21WarpExchangeAlgorithmE1E18BlockedToStripedOpdEvPT4_S4_
	.p2align	8
	.type	_Z20warp_exchange_kernelILj1024ELj1ELj8ELN6hipcub21WarpExchangeAlgorithmE1E18BlockedToStripedOpdEvPT4_S4_,@function
_Z20warp_exchange_kernelILj1024ELj1ELj8ELN6hipcub21WarpExchangeAlgorithmE1E18BlockedToStripedOpdEvPT4_S4_: ; @_Z20warp_exchange_kernelILj1024ELj1ELj8ELN6hipcub21WarpExchangeAlgorithmE1E18BlockedToStripedOpdEvPT4_S4_
; %bb.0:
	s_load_dwordx4 s[0:3], s[4:5], 0x0
	v_lshlrev_b32_e32 v2, 3, v0
	v_mbcnt_lo_u32_b32 v3, -1, 0
	v_mbcnt_hi_u32_b32 v3, -1, v3
	v_lshlrev_b32_e32 v3, 2, v3
	s_waitcnt lgkmcnt(0)
	global_load_dwordx2 v[0:1], v2, s[0:1]
	s_waitcnt vmcnt(0)
	ds_bpermute_b32 v0, v3, v0
	ds_bpermute_b32 v1, v3, v1
	s_waitcnt lgkmcnt(0)
	global_store_dwordx2 v2, v[0:1], s[2:3]
	s_endpgm
	.section	.rodata,"a",@progbits
	.p2align	6, 0x0
	.amdhsa_kernel _Z20warp_exchange_kernelILj1024ELj1ELj8ELN6hipcub21WarpExchangeAlgorithmE1E18BlockedToStripedOpdEvPT4_S4_
		.amdhsa_group_segment_fixed_size 0
		.amdhsa_private_segment_fixed_size 0
		.amdhsa_kernarg_size 16
		.amdhsa_user_sgpr_count 6
		.amdhsa_user_sgpr_private_segment_buffer 1
		.amdhsa_user_sgpr_dispatch_ptr 0
		.amdhsa_user_sgpr_queue_ptr 0
		.amdhsa_user_sgpr_kernarg_segment_ptr 1
		.amdhsa_user_sgpr_dispatch_id 0
		.amdhsa_user_sgpr_flat_scratch_init 0
		.amdhsa_user_sgpr_kernarg_preload_length 0
		.amdhsa_user_sgpr_kernarg_preload_offset 0
		.amdhsa_user_sgpr_private_segment_size 0
		.amdhsa_uses_dynamic_stack 0
		.amdhsa_system_sgpr_private_segment_wavefront_offset 0
		.amdhsa_system_sgpr_workgroup_id_x 1
		.amdhsa_system_sgpr_workgroup_id_y 0
		.amdhsa_system_sgpr_workgroup_id_z 0
		.amdhsa_system_sgpr_workgroup_info 0
		.amdhsa_system_vgpr_workitem_id 0
		.amdhsa_next_free_vgpr 4
		.amdhsa_next_free_sgpr 6
		.amdhsa_accum_offset 4
		.amdhsa_reserve_vcc 0
		.amdhsa_reserve_flat_scratch 0
		.amdhsa_float_round_mode_32 0
		.amdhsa_float_round_mode_16_64 0
		.amdhsa_float_denorm_mode_32 3
		.amdhsa_float_denorm_mode_16_64 3
		.amdhsa_dx10_clamp 1
		.amdhsa_ieee_mode 1
		.amdhsa_fp16_overflow 0
		.amdhsa_tg_split 0
		.amdhsa_exception_fp_ieee_invalid_op 0
		.amdhsa_exception_fp_denorm_src 0
		.amdhsa_exception_fp_ieee_div_zero 0
		.amdhsa_exception_fp_ieee_overflow 0
		.amdhsa_exception_fp_ieee_underflow 0
		.amdhsa_exception_fp_ieee_inexact 0
		.amdhsa_exception_int_div_zero 0
	.end_amdhsa_kernel
	.section	.text._Z20warp_exchange_kernelILj1024ELj1ELj8ELN6hipcub21WarpExchangeAlgorithmE1E18BlockedToStripedOpdEvPT4_S4_,"axG",@progbits,_Z20warp_exchange_kernelILj1024ELj1ELj8ELN6hipcub21WarpExchangeAlgorithmE1E18BlockedToStripedOpdEvPT4_S4_,comdat
.Lfunc_end143:
	.size	_Z20warp_exchange_kernelILj1024ELj1ELj8ELN6hipcub21WarpExchangeAlgorithmE1E18BlockedToStripedOpdEvPT4_S4_, .Lfunc_end143-_Z20warp_exchange_kernelILj1024ELj1ELj8ELN6hipcub21WarpExchangeAlgorithmE1E18BlockedToStripedOpdEvPT4_S4_
                                        ; -- End function
	.section	.AMDGPU.csdata,"",@progbits
; Kernel info:
; codeLenInByte = 80
; NumSgprs: 10
; NumVgprs: 4
; NumAgprs: 0
; TotalNumVgprs: 4
; ScratchSize: 0
; MemoryBound: 0
; FloatMode: 240
; IeeeMode: 1
; LDSByteSize: 0 bytes/workgroup (compile time only)
; SGPRBlocks: 1
; VGPRBlocks: 0
; NumSGPRsForWavesPerEU: 10
; NumVGPRsForWavesPerEU: 4
; AccumOffset: 4
; Occupancy: 8
; WaveLimiterHint : 0
; COMPUTE_PGM_RSRC2:SCRATCH_EN: 0
; COMPUTE_PGM_RSRC2:USER_SGPR: 6
; COMPUTE_PGM_RSRC2:TRAP_HANDLER: 0
; COMPUTE_PGM_RSRC2:TGID_X_EN: 1
; COMPUTE_PGM_RSRC2:TGID_Y_EN: 0
; COMPUTE_PGM_RSRC2:TGID_Z_EN: 0
; COMPUTE_PGM_RSRC2:TIDIG_COMP_CNT: 0
; COMPUTE_PGM_RSRC3_GFX90A:ACCUM_OFFSET: 0
; COMPUTE_PGM_RSRC3_GFX90A:TG_SPLIT: 0
	.section	.text._Z20warp_exchange_kernelILj1024ELj4ELj64ELN6hipcub21WarpExchangeAlgorithmE1E18BlockedToStripedOpiEvPT4_S4_,"axG",@progbits,_Z20warp_exchange_kernelILj1024ELj4ELj64ELN6hipcub21WarpExchangeAlgorithmE1E18BlockedToStripedOpiEvPT4_S4_,comdat
	.protected	_Z20warp_exchange_kernelILj1024ELj4ELj64ELN6hipcub21WarpExchangeAlgorithmE1E18BlockedToStripedOpiEvPT4_S4_ ; -- Begin function _Z20warp_exchange_kernelILj1024ELj4ELj64ELN6hipcub21WarpExchangeAlgorithmE1E18BlockedToStripedOpiEvPT4_S4_
	.globl	_Z20warp_exchange_kernelILj1024ELj4ELj64ELN6hipcub21WarpExchangeAlgorithmE1E18BlockedToStripedOpiEvPT4_S4_
	.p2align	8
	.type	_Z20warp_exchange_kernelILj1024ELj4ELj64ELN6hipcub21WarpExchangeAlgorithmE1E18BlockedToStripedOpiEvPT4_S4_,@function
_Z20warp_exchange_kernelILj1024ELj4ELj64ELN6hipcub21WarpExchangeAlgorithmE1E18BlockedToStripedOpiEvPT4_S4_: ; @_Z20warp_exchange_kernelILj1024ELj4ELj64ELN6hipcub21WarpExchangeAlgorithmE1E18BlockedToStripedOpiEvPT4_S4_
; %bb.0:
	s_load_dwordx4 s[0:3], s[4:5], 0x0
	v_lshlrev_b32_e32 v4, 4, v0
	v_mbcnt_lo_u32_b32 v5, -1, 0
	v_mbcnt_hi_u32_b32 v5, -1, v5
	v_lshrrev_b32_e32 v6, 2, v5
	s_waitcnt lgkmcnt(0)
	global_load_dwordx4 v[0:3], v4, s[0:1]
	v_and_b32_e32 v7, 64, v5
	v_or_b32_e32 v8, v6, v7
	v_add_u32_e32 v6, 48, v6
	v_and_or_b32 v6, v6, 63, v7
	v_lshlrev_b32_e32 v8, 2, v8
	v_lshlrev_b32_e32 v6, 2, v6
	v_and_b32_e32 v5, 3, v5
	v_cmp_eq_u32_e32 vcc, 1, v5
	s_waitcnt vmcnt(0)
	ds_bpermute_b32 v7, v8, v0
	ds_bpermute_b32 v9, v8, v1
	ds_bpermute_b32 v12, v8, v0 offset:64
	ds_bpermute_b32 v13, v8, v1 offset:64
	ds_bpermute_b32 v16, v8, v0 offset:128
	ds_bpermute_b32 v17, v8, v1 offset:128
	ds_bpermute_b32 v0, v6, v0
	ds_bpermute_b32 v1, v6, v1
	;; [unrolled: 1-line block ×3, first 2 shown]
	ds_bpermute_b32 v14, v8, v2 offset:64
	ds_bpermute_b32 v18, v8, v2 offset:128
	ds_bpermute_b32 v2, v6, v2
	ds_bpermute_b32 v11, v8, v3
	ds_bpermute_b32 v15, v8, v3 offset:64
	ds_bpermute_b32 v8, v8, v3 offset:128
	ds_bpermute_b32 v3, v6, v3
	s_waitcnt lgkmcnt(14)
	v_cndmask_b32_e32 v6, v7, v9, vcc
	s_waitcnt lgkmcnt(12)
	v_cndmask_b32_e32 v7, v12, v13, vcc
	;; [unrolled: 2-line block ×4, first 2 shown]
	v_cmp_eq_u32_e32 vcc, 2, v5
	s_waitcnt lgkmcnt(7)
	v_cndmask_b32_e32 v1, v6, v10, vcc
	s_waitcnt lgkmcnt(6)
	v_cndmask_b32_e32 v6, v7, v14, vcc
	;; [unrolled: 2-line block ×4, first 2 shown]
	v_cmp_eq_u32_e32 vcc, 3, v5
	s_waitcnt lgkmcnt(3)
	v_cndmask_b32_e32 v0, v1, v11, vcc
	s_waitcnt lgkmcnt(2)
	v_cndmask_b32_e32 v1, v6, v15, vcc
	;; [unrolled: 2-line block ×4, first 2 shown]
	global_store_dwordx4 v4, v[0:3], s[2:3]
	s_endpgm
	.section	.rodata,"a",@progbits
	.p2align	6, 0x0
	.amdhsa_kernel _Z20warp_exchange_kernelILj1024ELj4ELj64ELN6hipcub21WarpExchangeAlgorithmE1E18BlockedToStripedOpiEvPT4_S4_
		.amdhsa_group_segment_fixed_size 0
		.amdhsa_private_segment_fixed_size 0
		.amdhsa_kernarg_size 16
		.amdhsa_user_sgpr_count 6
		.amdhsa_user_sgpr_private_segment_buffer 1
		.amdhsa_user_sgpr_dispatch_ptr 0
		.amdhsa_user_sgpr_queue_ptr 0
		.amdhsa_user_sgpr_kernarg_segment_ptr 1
		.amdhsa_user_sgpr_dispatch_id 0
		.amdhsa_user_sgpr_flat_scratch_init 0
		.amdhsa_user_sgpr_kernarg_preload_length 0
		.amdhsa_user_sgpr_kernarg_preload_offset 0
		.amdhsa_user_sgpr_private_segment_size 0
		.amdhsa_uses_dynamic_stack 0
		.amdhsa_system_sgpr_private_segment_wavefront_offset 0
		.amdhsa_system_sgpr_workgroup_id_x 1
		.amdhsa_system_sgpr_workgroup_id_y 0
		.amdhsa_system_sgpr_workgroup_id_z 0
		.amdhsa_system_sgpr_workgroup_info 0
		.amdhsa_system_vgpr_workitem_id 0
		.amdhsa_next_free_vgpr 19
		.amdhsa_next_free_sgpr 6
		.amdhsa_accum_offset 20
		.amdhsa_reserve_vcc 1
		.amdhsa_reserve_flat_scratch 0
		.amdhsa_float_round_mode_32 0
		.amdhsa_float_round_mode_16_64 0
		.amdhsa_float_denorm_mode_32 3
		.amdhsa_float_denorm_mode_16_64 3
		.amdhsa_dx10_clamp 1
		.amdhsa_ieee_mode 1
		.amdhsa_fp16_overflow 0
		.amdhsa_tg_split 0
		.amdhsa_exception_fp_ieee_invalid_op 0
		.amdhsa_exception_fp_denorm_src 0
		.amdhsa_exception_fp_ieee_div_zero 0
		.amdhsa_exception_fp_ieee_overflow 0
		.amdhsa_exception_fp_ieee_underflow 0
		.amdhsa_exception_fp_ieee_inexact 0
		.amdhsa_exception_int_div_zero 0
	.end_amdhsa_kernel
	.section	.text._Z20warp_exchange_kernelILj1024ELj4ELj64ELN6hipcub21WarpExchangeAlgorithmE1E18BlockedToStripedOpiEvPT4_S4_,"axG",@progbits,_Z20warp_exchange_kernelILj1024ELj4ELj64ELN6hipcub21WarpExchangeAlgorithmE1E18BlockedToStripedOpiEvPT4_S4_,comdat
.Lfunc_end144:
	.size	_Z20warp_exchange_kernelILj1024ELj4ELj64ELN6hipcub21WarpExchangeAlgorithmE1E18BlockedToStripedOpiEvPT4_S4_, .Lfunc_end144-_Z20warp_exchange_kernelILj1024ELj4ELj64ELN6hipcub21WarpExchangeAlgorithmE1E18BlockedToStripedOpiEvPT4_S4_
                                        ; -- End function
	.section	.AMDGPU.csdata,"",@progbits
; Kernel info:
; codeLenInByte = 328
; NumSgprs: 10
; NumVgprs: 19
; NumAgprs: 0
; TotalNumVgprs: 19
; ScratchSize: 0
; MemoryBound: 0
; FloatMode: 240
; IeeeMode: 1
; LDSByteSize: 0 bytes/workgroup (compile time only)
; SGPRBlocks: 1
; VGPRBlocks: 2
; NumSGPRsForWavesPerEU: 10
; NumVGPRsForWavesPerEU: 19
; AccumOffset: 20
; Occupancy: 8
; WaveLimiterHint : 0
; COMPUTE_PGM_RSRC2:SCRATCH_EN: 0
; COMPUTE_PGM_RSRC2:USER_SGPR: 6
; COMPUTE_PGM_RSRC2:TRAP_HANDLER: 0
; COMPUTE_PGM_RSRC2:TGID_X_EN: 1
; COMPUTE_PGM_RSRC2:TGID_Y_EN: 0
; COMPUTE_PGM_RSRC2:TGID_Z_EN: 0
; COMPUTE_PGM_RSRC2:TIDIG_COMP_CNT: 0
; COMPUTE_PGM_RSRC3_GFX90A:ACCUM_OFFSET: 4
; COMPUTE_PGM_RSRC3_GFX90A:TG_SPLIT: 0
	.section	.text._Z20warp_exchange_kernelILj1024ELj1ELj64ELN6hipcub21WarpExchangeAlgorithmE1E18BlockedToStripedOpiEvPT4_S4_,"axG",@progbits,_Z20warp_exchange_kernelILj1024ELj1ELj64ELN6hipcub21WarpExchangeAlgorithmE1E18BlockedToStripedOpiEvPT4_S4_,comdat
	.protected	_Z20warp_exchange_kernelILj1024ELj1ELj64ELN6hipcub21WarpExchangeAlgorithmE1E18BlockedToStripedOpiEvPT4_S4_ ; -- Begin function _Z20warp_exchange_kernelILj1024ELj1ELj64ELN6hipcub21WarpExchangeAlgorithmE1E18BlockedToStripedOpiEvPT4_S4_
	.globl	_Z20warp_exchange_kernelILj1024ELj1ELj64ELN6hipcub21WarpExchangeAlgorithmE1E18BlockedToStripedOpiEvPT4_S4_
	.p2align	8
	.type	_Z20warp_exchange_kernelILj1024ELj1ELj64ELN6hipcub21WarpExchangeAlgorithmE1E18BlockedToStripedOpiEvPT4_S4_,@function
_Z20warp_exchange_kernelILj1024ELj1ELj64ELN6hipcub21WarpExchangeAlgorithmE1E18BlockedToStripedOpiEvPT4_S4_: ; @_Z20warp_exchange_kernelILj1024ELj1ELj64ELN6hipcub21WarpExchangeAlgorithmE1E18BlockedToStripedOpiEvPT4_S4_
; %bb.0:
	s_load_dwordx4 s[0:3], s[4:5], 0x0
	v_lshlrev_b32_e32 v0, 2, v0
	v_mbcnt_lo_u32_b32 v2, -1, 0
	v_mbcnt_hi_u32_b32 v2, -1, v2
	v_lshlrev_b32_e32 v2, 2, v2
	s_waitcnt lgkmcnt(0)
	global_load_dword v1, v0, s[0:1]
	s_waitcnt vmcnt(0)
	ds_bpermute_b32 v1, v2, v1
	s_waitcnt lgkmcnt(0)
	global_store_dword v0, v1, s[2:3]
	s_endpgm
	.section	.rodata,"a",@progbits
	.p2align	6, 0x0
	.amdhsa_kernel _Z20warp_exchange_kernelILj1024ELj1ELj64ELN6hipcub21WarpExchangeAlgorithmE1E18BlockedToStripedOpiEvPT4_S4_
		.amdhsa_group_segment_fixed_size 0
		.amdhsa_private_segment_fixed_size 0
		.amdhsa_kernarg_size 16
		.amdhsa_user_sgpr_count 6
		.amdhsa_user_sgpr_private_segment_buffer 1
		.amdhsa_user_sgpr_dispatch_ptr 0
		.amdhsa_user_sgpr_queue_ptr 0
		.amdhsa_user_sgpr_kernarg_segment_ptr 1
		.amdhsa_user_sgpr_dispatch_id 0
		.amdhsa_user_sgpr_flat_scratch_init 0
		.amdhsa_user_sgpr_kernarg_preload_length 0
		.amdhsa_user_sgpr_kernarg_preload_offset 0
		.amdhsa_user_sgpr_private_segment_size 0
		.amdhsa_uses_dynamic_stack 0
		.amdhsa_system_sgpr_private_segment_wavefront_offset 0
		.amdhsa_system_sgpr_workgroup_id_x 1
		.amdhsa_system_sgpr_workgroup_id_y 0
		.amdhsa_system_sgpr_workgroup_id_z 0
		.amdhsa_system_sgpr_workgroup_info 0
		.amdhsa_system_vgpr_workitem_id 0
		.amdhsa_next_free_vgpr 3
		.amdhsa_next_free_sgpr 6
		.amdhsa_accum_offset 4
		.amdhsa_reserve_vcc 0
		.amdhsa_reserve_flat_scratch 0
		.amdhsa_float_round_mode_32 0
		.amdhsa_float_round_mode_16_64 0
		.amdhsa_float_denorm_mode_32 3
		.amdhsa_float_denorm_mode_16_64 3
		.amdhsa_dx10_clamp 1
		.amdhsa_ieee_mode 1
		.amdhsa_fp16_overflow 0
		.amdhsa_tg_split 0
		.amdhsa_exception_fp_ieee_invalid_op 0
		.amdhsa_exception_fp_denorm_src 0
		.amdhsa_exception_fp_ieee_div_zero 0
		.amdhsa_exception_fp_ieee_overflow 0
		.amdhsa_exception_fp_ieee_underflow 0
		.amdhsa_exception_fp_ieee_inexact 0
		.amdhsa_exception_int_div_zero 0
	.end_amdhsa_kernel
	.section	.text._Z20warp_exchange_kernelILj1024ELj1ELj64ELN6hipcub21WarpExchangeAlgorithmE1E18BlockedToStripedOpiEvPT4_S4_,"axG",@progbits,_Z20warp_exchange_kernelILj1024ELj1ELj64ELN6hipcub21WarpExchangeAlgorithmE1E18BlockedToStripedOpiEvPT4_S4_,comdat
.Lfunc_end145:
	.size	_Z20warp_exchange_kernelILj1024ELj1ELj64ELN6hipcub21WarpExchangeAlgorithmE1E18BlockedToStripedOpiEvPT4_S4_, .Lfunc_end145-_Z20warp_exchange_kernelILj1024ELj1ELj64ELN6hipcub21WarpExchangeAlgorithmE1E18BlockedToStripedOpiEvPT4_S4_
                                        ; -- End function
	.section	.AMDGPU.csdata,"",@progbits
; Kernel info:
; codeLenInByte = 72
; NumSgprs: 10
; NumVgprs: 3
; NumAgprs: 0
; TotalNumVgprs: 3
; ScratchSize: 0
; MemoryBound: 0
; FloatMode: 240
; IeeeMode: 1
; LDSByteSize: 0 bytes/workgroup (compile time only)
; SGPRBlocks: 1
; VGPRBlocks: 0
; NumSGPRsForWavesPerEU: 10
; NumVGPRsForWavesPerEU: 3
; AccumOffset: 4
; Occupancy: 8
; WaveLimiterHint : 0
; COMPUTE_PGM_RSRC2:SCRATCH_EN: 0
; COMPUTE_PGM_RSRC2:USER_SGPR: 6
; COMPUTE_PGM_RSRC2:TRAP_HANDLER: 0
; COMPUTE_PGM_RSRC2:TGID_X_EN: 1
; COMPUTE_PGM_RSRC2:TGID_Y_EN: 0
; COMPUTE_PGM_RSRC2:TGID_Z_EN: 0
; COMPUTE_PGM_RSRC2:TIDIG_COMP_CNT: 0
; COMPUTE_PGM_RSRC3_GFX90A:ACCUM_OFFSET: 0
; COMPUTE_PGM_RSRC3_GFX90A:TG_SPLIT: 0
	.section	.text._Z20warp_exchange_kernelILj1024ELj4ELj32ELN6hipcub21WarpExchangeAlgorithmE1E18BlockedToStripedOpiEvPT4_S4_,"axG",@progbits,_Z20warp_exchange_kernelILj1024ELj4ELj32ELN6hipcub21WarpExchangeAlgorithmE1E18BlockedToStripedOpiEvPT4_S4_,comdat
	.protected	_Z20warp_exchange_kernelILj1024ELj4ELj32ELN6hipcub21WarpExchangeAlgorithmE1E18BlockedToStripedOpiEvPT4_S4_ ; -- Begin function _Z20warp_exchange_kernelILj1024ELj4ELj32ELN6hipcub21WarpExchangeAlgorithmE1E18BlockedToStripedOpiEvPT4_S4_
	.globl	_Z20warp_exchange_kernelILj1024ELj4ELj32ELN6hipcub21WarpExchangeAlgorithmE1E18BlockedToStripedOpiEvPT4_S4_
	.p2align	8
	.type	_Z20warp_exchange_kernelILj1024ELj4ELj32ELN6hipcub21WarpExchangeAlgorithmE1E18BlockedToStripedOpiEvPT4_S4_,@function
_Z20warp_exchange_kernelILj1024ELj4ELj32ELN6hipcub21WarpExchangeAlgorithmE1E18BlockedToStripedOpiEvPT4_S4_: ; @_Z20warp_exchange_kernelILj1024ELj4ELj32ELN6hipcub21WarpExchangeAlgorithmE1E18BlockedToStripedOpiEvPT4_S4_
; %bb.0:
	s_load_dwordx4 s[0:3], s[4:5], 0x0
	v_lshlrev_b32_e32 v4, 4, v0
	v_mbcnt_lo_u32_b32 v5, -1, 0
	v_mbcnt_hi_u32_b32 v5, -1, v5
	v_and_b32_e32 v6, 3, v5
	s_waitcnt lgkmcnt(0)
	global_load_dwordx4 v[0:3], v4, s[0:1]
	s_movk_i32 s0, 0x180
	v_lshlrev_b32_e32 v7, 2, v5
	v_and_b32_e32 v5, 28, v5
	v_and_or_b32 v5, v7, s0, v5
	v_cmp_eq_u32_e32 vcc, 1, v6
	s_waitcnt vmcnt(0)
	ds_bpermute_b32 v7, v5, v0
	ds_bpermute_b32 v8, v5, v1
	ds_bpermute_b32 v11, v5, v0 offset:32
	ds_bpermute_b32 v12, v5, v1 offset:32
	;; [unrolled: 1-line block ×6, first 2 shown]
	ds_bpermute_b32 v9, v5, v2
	ds_bpermute_b32 v13, v5, v2 offset:32
	ds_bpermute_b32 v17, v5, v2 offset:64
	;; [unrolled: 1-line block ×3, first 2 shown]
	ds_bpermute_b32 v10, v5, v3
	ds_bpermute_b32 v14, v5, v3 offset:32
	ds_bpermute_b32 v18, v5, v3 offset:64
	;; [unrolled: 1-line block ×3, first 2 shown]
	s_waitcnt lgkmcnt(14)
	v_cndmask_b32_e32 v5, v7, v8, vcc
	s_waitcnt lgkmcnt(12)
	v_cndmask_b32_e32 v7, v11, v12, vcc
	;; [unrolled: 2-line block ×4, first 2 shown]
	v_cmp_eq_u32_e32 vcc, 2, v6
	s_waitcnt lgkmcnt(7)
	v_cndmask_b32_e32 v1, v5, v9, vcc
	s_waitcnt lgkmcnt(6)
	v_cndmask_b32_e32 v5, v7, v13, vcc
	;; [unrolled: 2-line block ×4, first 2 shown]
	v_cmp_eq_u32_e32 vcc, 3, v6
	s_waitcnt lgkmcnt(3)
	v_cndmask_b32_e32 v0, v1, v10, vcc
	s_waitcnt lgkmcnt(2)
	v_cndmask_b32_e32 v1, v5, v14, vcc
	;; [unrolled: 2-line block ×4, first 2 shown]
	global_store_dwordx4 v4, v[0:3], s[2:3]
	s_endpgm
	.section	.rodata,"a",@progbits
	.p2align	6, 0x0
	.amdhsa_kernel _Z20warp_exchange_kernelILj1024ELj4ELj32ELN6hipcub21WarpExchangeAlgorithmE1E18BlockedToStripedOpiEvPT4_S4_
		.amdhsa_group_segment_fixed_size 0
		.amdhsa_private_segment_fixed_size 0
		.amdhsa_kernarg_size 16
		.amdhsa_user_sgpr_count 6
		.amdhsa_user_sgpr_private_segment_buffer 1
		.amdhsa_user_sgpr_dispatch_ptr 0
		.amdhsa_user_sgpr_queue_ptr 0
		.amdhsa_user_sgpr_kernarg_segment_ptr 1
		.amdhsa_user_sgpr_dispatch_id 0
		.amdhsa_user_sgpr_flat_scratch_init 0
		.amdhsa_user_sgpr_kernarg_preload_length 0
		.amdhsa_user_sgpr_kernarg_preload_offset 0
		.amdhsa_user_sgpr_private_segment_size 0
		.amdhsa_uses_dynamic_stack 0
		.amdhsa_system_sgpr_private_segment_wavefront_offset 0
		.amdhsa_system_sgpr_workgroup_id_x 1
		.amdhsa_system_sgpr_workgroup_id_y 0
		.amdhsa_system_sgpr_workgroup_id_z 0
		.amdhsa_system_sgpr_workgroup_info 0
		.amdhsa_system_vgpr_workitem_id 0
		.amdhsa_next_free_vgpr 19
		.amdhsa_next_free_sgpr 6
		.amdhsa_accum_offset 20
		.amdhsa_reserve_vcc 1
		.amdhsa_reserve_flat_scratch 0
		.amdhsa_float_round_mode_32 0
		.amdhsa_float_round_mode_16_64 0
		.amdhsa_float_denorm_mode_32 3
		.amdhsa_float_denorm_mode_16_64 3
		.amdhsa_dx10_clamp 1
		.amdhsa_ieee_mode 1
		.amdhsa_fp16_overflow 0
		.amdhsa_tg_split 0
		.amdhsa_exception_fp_ieee_invalid_op 0
		.amdhsa_exception_fp_denorm_src 0
		.amdhsa_exception_fp_ieee_div_zero 0
		.amdhsa_exception_fp_ieee_overflow 0
		.amdhsa_exception_fp_ieee_underflow 0
		.amdhsa_exception_fp_ieee_inexact 0
		.amdhsa_exception_int_div_zero 0
	.end_amdhsa_kernel
	.section	.text._Z20warp_exchange_kernelILj1024ELj4ELj32ELN6hipcub21WarpExchangeAlgorithmE1E18BlockedToStripedOpiEvPT4_S4_,"axG",@progbits,_Z20warp_exchange_kernelILj1024ELj4ELj32ELN6hipcub21WarpExchangeAlgorithmE1E18BlockedToStripedOpiEvPT4_S4_,comdat
.Lfunc_end146:
	.size	_Z20warp_exchange_kernelILj1024ELj4ELj32ELN6hipcub21WarpExchangeAlgorithmE1E18BlockedToStripedOpiEvPT4_S4_, .Lfunc_end146-_Z20warp_exchange_kernelILj1024ELj4ELj32ELN6hipcub21WarpExchangeAlgorithmE1E18BlockedToStripedOpiEvPT4_S4_
                                        ; -- End function
	.section	.AMDGPU.csdata,"",@progbits
; Kernel info:
; codeLenInByte = 316
; NumSgprs: 10
; NumVgprs: 19
; NumAgprs: 0
; TotalNumVgprs: 19
; ScratchSize: 0
; MemoryBound: 0
; FloatMode: 240
; IeeeMode: 1
; LDSByteSize: 0 bytes/workgroup (compile time only)
; SGPRBlocks: 1
; VGPRBlocks: 2
; NumSGPRsForWavesPerEU: 10
; NumVGPRsForWavesPerEU: 19
; AccumOffset: 20
; Occupancy: 8
; WaveLimiterHint : 0
; COMPUTE_PGM_RSRC2:SCRATCH_EN: 0
; COMPUTE_PGM_RSRC2:USER_SGPR: 6
; COMPUTE_PGM_RSRC2:TRAP_HANDLER: 0
; COMPUTE_PGM_RSRC2:TGID_X_EN: 1
; COMPUTE_PGM_RSRC2:TGID_Y_EN: 0
; COMPUTE_PGM_RSRC2:TGID_Z_EN: 0
; COMPUTE_PGM_RSRC2:TIDIG_COMP_CNT: 0
; COMPUTE_PGM_RSRC3_GFX90A:ACCUM_OFFSET: 4
; COMPUTE_PGM_RSRC3_GFX90A:TG_SPLIT: 0
	.section	.text._Z20warp_exchange_kernelILj1024ELj1ELj32ELN6hipcub21WarpExchangeAlgorithmE1E18BlockedToStripedOpiEvPT4_S4_,"axG",@progbits,_Z20warp_exchange_kernelILj1024ELj1ELj32ELN6hipcub21WarpExchangeAlgorithmE1E18BlockedToStripedOpiEvPT4_S4_,comdat
	.protected	_Z20warp_exchange_kernelILj1024ELj1ELj32ELN6hipcub21WarpExchangeAlgorithmE1E18BlockedToStripedOpiEvPT4_S4_ ; -- Begin function _Z20warp_exchange_kernelILj1024ELj1ELj32ELN6hipcub21WarpExchangeAlgorithmE1E18BlockedToStripedOpiEvPT4_S4_
	.globl	_Z20warp_exchange_kernelILj1024ELj1ELj32ELN6hipcub21WarpExchangeAlgorithmE1E18BlockedToStripedOpiEvPT4_S4_
	.p2align	8
	.type	_Z20warp_exchange_kernelILj1024ELj1ELj32ELN6hipcub21WarpExchangeAlgorithmE1E18BlockedToStripedOpiEvPT4_S4_,@function
_Z20warp_exchange_kernelILj1024ELj1ELj32ELN6hipcub21WarpExchangeAlgorithmE1E18BlockedToStripedOpiEvPT4_S4_: ; @_Z20warp_exchange_kernelILj1024ELj1ELj32ELN6hipcub21WarpExchangeAlgorithmE1E18BlockedToStripedOpiEvPT4_S4_
; %bb.0:
	s_load_dwordx4 s[0:3], s[4:5], 0x0
	v_lshlrev_b32_e32 v0, 2, v0
	v_mbcnt_lo_u32_b32 v2, -1, 0
	v_mbcnt_hi_u32_b32 v2, -1, v2
	v_lshlrev_b32_e32 v2, 2, v2
	s_waitcnt lgkmcnt(0)
	global_load_dword v1, v0, s[0:1]
	s_waitcnt vmcnt(0)
	ds_bpermute_b32 v1, v2, v1
	s_waitcnt lgkmcnt(0)
	global_store_dword v0, v1, s[2:3]
	s_endpgm
	.section	.rodata,"a",@progbits
	.p2align	6, 0x0
	.amdhsa_kernel _Z20warp_exchange_kernelILj1024ELj1ELj32ELN6hipcub21WarpExchangeAlgorithmE1E18BlockedToStripedOpiEvPT4_S4_
		.amdhsa_group_segment_fixed_size 0
		.amdhsa_private_segment_fixed_size 0
		.amdhsa_kernarg_size 16
		.amdhsa_user_sgpr_count 6
		.amdhsa_user_sgpr_private_segment_buffer 1
		.amdhsa_user_sgpr_dispatch_ptr 0
		.amdhsa_user_sgpr_queue_ptr 0
		.amdhsa_user_sgpr_kernarg_segment_ptr 1
		.amdhsa_user_sgpr_dispatch_id 0
		.amdhsa_user_sgpr_flat_scratch_init 0
		.amdhsa_user_sgpr_kernarg_preload_length 0
		.amdhsa_user_sgpr_kernarg_preload_offset 0
		.amdhsa_user_sgpr_private_segment_size 0
		.amdhsa_uses_dynamic_stack 0
		.amdhsa_system_sgpr_private_segment_wavefront_offset 0
		.amdhsa_system_sgpr_workgroup_id_x 1
		.amdhsa_system_sgpr_workgroup_id_y 0
		.amdhsa_system_sgpr_workgroup_id_z 0
		.amdhsa_system_sgpr_workgroup_info 0
		.amdhsa_system_vgpr_workitem_id 0
		.amdhsa_next_free_vgpr 3
		.amdhsa_next_free_sgpr 6
		.amdhsa_accum_offset 4
		.amdhsa_reserve_vcc 0
		.amdhsa_reserve_flat_scratch 0
		.amdhsa_float_round_mode_32 0
		.amdhsa_float_round_mode_16_64 0
		.amdhsa_float_denorm_mode_32 3
		.amdhsa_float_denorm_mode_16_64 3
		.amdhsa_dx10_clamp 1
		.amdhsa_ieee_mode 1
		.amdhsa_fp16_overflow 0
		.amdhsa_tg_split 0
		.amdhsa_exception_fp_ieee_invalid_op 0
		.amdhsa_exception_fp_denorm_src 0
		.amdhsa_exception_fp_ieee_div_zero 0
		.amdhsa_exception_fp_ieee_overflow 0
		.amdhsa_exception_fp_ieee_underflow 0
		.amdhsa_exception_fp_ieee_inexact 0
		.amdhsa_exception_int_div_zero 0
	.end_amdhsa_kernel
	.section	.text._Z20warp_exchange_kernelILj1024ELj1ELj32ELN6hipcub21WarpExchangeAlgorithmE1E18BlockedToStripedOpiEvPT4_S4_,"axG",@progbits,_Z20warp_exchange_kernelILj1024ELj1ELj32ELN6hipcub21WarpExchangeAlgorithmE1E18BlockedToStripedOpiEvPT4_S4_,comdat
.Lfunc_end147:
	.size	_Z20warp_exchange_kernelILj1024ELj1ELj32ELN6hipcub21WarpExchangeAlgorithmE1E18BlockedToStripedOpiEvPT4_S4_, .Lfunc_end147-_Z20warp_exchange_kernelILj1024ELj1ELj32ELN6hipcub21WarpExchangeAlgorithmE1E18BlockedToStripedOpiEvPT4_S4_
                                        ; -- End function
	.section	.AMDGPU.csdata,"",@progbits
; Kernel info:
; codeLenInByte = 72
; NumSgprs: 10
; NumVgprs: 3
; NumAgprs: 0
; TotalNumVgprs: 3
; ScratchSize: 0
; MemoryBound: 0
; FloatMode: 240
; IeeeMode: 1
; LDSByteSize: 0 bytes/workgroup (compile time only)
; SGPRBlocks: 1
; VGPRBlocks: 0
; NumSGPRsForWavesPerEU: 10
; NumVGPRsForWavesPerEU: 3
; AccumOffset: 4
; Occupancy: 8
; WaveLimiterHint : 0
; COMPUTE_PGM_RSRC2:SCRATCH_EN: 0
; COMPUTE_PGM_RSRC2:USER_SGPR: 6
; COMPUTE_PGM_RSRC2:TRAP_HANDLER: 0
; COMPUTE_PGM_RSRC2:TGID_X_EN: 1
; COMPUTE_PGM_RSRC2:TGID_Y_EN: 0
; COMPUTE_PGM_RSRC2:TGID_Z_EN: 0
; COMPUTE_PGM_RSRC2:TIDIG_COMP_CNT: 0
; COMPUTE_PGM_RSRC3_GFX90A:ACCUM_OFFSET: 0
; COMPUTE_PGM_RSRC3_GFX90A:TG_SPLIT: 0
	.section	.text._Z20warp_exchange_kernelILj1024ELj4ELj16ELN6hipcub21WarpExchangeAlgorithmE1E18BlockedToStripedOpiEvPT4_S4_,"axG",@progbits,_Z20warp_exchange_kernelILj1024ELj4ELj16ELN6hipcub21WarpExchangeAlgorithmE1E18BlockedToStripedOpiEvPT4_S4_,comdat
	.protected	_Z20warp_exchange_kernelILj1024ELj4ELj16ELN6hipcub21WarpExchangeAlgorithmE1E18BlockedToStripedOpiEvPT4_S4_ ; -- Begin function _Z20warp_exchange_kernelILj1024ELj4ELj16ELN6hipcub21WarpExchangeAlgorithmE1E18BlockedToStripedOpiEvPT4_S4_
	.globl	_Z20warp_exchange_kernelILj1024ELj4ELj16ELN6hipcub21WarpExchangeAlgorithmE1E18BlockedToStripedOpiEvPT4_S4_
	.p2align	8
	.type	_Z20warp_exchange_kernelILj1024ELj4ELj16ELN6hipcub21WarpExchangeAlgorithmE1E18BlockedToStripedOpiEvPT4_S4_,@function
_Z20warp_exchange_kernelILj1024ELj4ELj16ELN6hipcub21WarpExchangeAlgorithmE1E18BlockedToStripedOpiEvPT4_S4_: ; @_Z20warp_exchange_kernelILj1024ELj4ELj16ELN6hipcub21WarpExchangeAlgorithmE1E18BlockedToStripedOpiEvPT4_S4_
; %bb.0:
	s_load_dwordx4 s[0:3], s[4:5], 0x0
	v_lshlrev_b32_e32 v4, 4, v0
	v_mbcnt_lo_u32_b32 v5, -1, 0
	v_mbcnt_hi_u32_b32 v5, -1, v5
	v_and_b32_e32 v6, 3, v5
	s_waitcnt lgkmcnt(0)
	global_load_dwordx4 v[0:3], v4, s[0:1]
	s_movk_i32 s0, 0x1c0
	v_lshlrev_b32_e32 v7, 2, v5
	v_and_b32_e32 v5, 12, v5
	v_and_or_b32 v5, v7, s0, v5
	v_cmp_eq_u32_e32 vcc, 1, v6
	s_waitcnt vmcnt(0)
	ds_bpermute_b32 v7, v5, v0
	ds_bpermute_b32 v8, v5, v1
	ds_bpermute_b32 v11, v5, v0 offset:16
	ds_bpermute_b32 v12, v5, v1 offset:16
	;; [unrolled: 1-line block ×6, first 2 shown]
	ds_bpermute_b32 v9, v5, v2
	ds_bpermute_b32 v13, v5, v2 offset:16
	ds_bpermute_b32 v17, v5, v2 offset:32
	;; [unrolled: 1-line block ×3, first 2 shown]
	ds_bpermute_b32 v10, v5, v3
	ds_bpermute_b32 v14, v5, v3 offset:16
	ds_bpermute_b32 v18, v5, v3 offset:32
	;; [unrolled: 1-line block ×3, first 2 shown]
	s_waitcnt lgkmcnt(14)
	v_cndmask_b32_e32 v5, v7, v8, vcc
	s_waitcnt lgkmcnt(12)
	v_cndmask_b32_e32 v7, v11, v12, vcc
	;; [unrolled: 2-line block ×4, first 2 shown]
	v_cmp_eq_u32_e32 vcc, 2, v6
	s_waitcnt lgkmcnt(7)
	v_cndmask_b32_e32 v1, v5, v9, vcc
	s_waitcnt lgkmcnt(6)
	v_cndmask_b32_e32 v5, v7, v13, vcc
	s_waitcnt lgkmcnt(5)
	v_cndmask_b32_e32 v7, v8, v17, vcc
	s_waitcnt lgkmcnt(4)
	v_cndmask_b32_e32 v8, v0, v2, vcc
	v_cmp_eq_u32_e32 vcc, 3, v6
	s_waitcnt lgkmcnt(3)
	v_cndmask_b32_e32 v0, v1, v10, vcc
	s_waitcnt lgkmcnt(2)
	v_cndmask_b32_e32 v1, v5, v14, vcc
	;; [unrolled: 2-line block ×4, first 2 shown]
	global_store_dwordx4 v4, v[0:3], s[2:3]
	s_endpgm
	.section	.rodata,"a",@progbits
	.p2align	6, 0x0
	.amdhsa_kernel _Z20warp_exchange_kernelILj1024ELj4ELj16ELN6hipcub21WarpExchangeAlgorithmE1E18BlockedToStripedOpiEvPT4_S4_
		.amdhsa_group_segment_fixed_size 0
		.amdhsa_private_segment_fixed_size 0
		.amdhsa_kernarg_size 16
		.amdhsa_user_sgpr_count 6
		.amdhsa_user_sgpr_private_segment_buffer 1
		.amdhsa_user_sgpr_dispatch_ptr 0
		.amdhsa_user_sgpr_queue_ptr 0
		.amdhsa_user_sgpr_kernarg_segment_ptr 1
		.amdhsa_user_sgpr_dispatch_id 0
		.amdhsa_user_sgpr_flat_scratch_init 0
		.amdhsa_user_sgpr_kernarg_preload_length 0
		.amdhsa_user_sgpr_kernarg_preload_offset 0
		.amdhsa_user_sgpr_private_segment_size 0
		.amdhsa_uses_dynamic_stack 0
		.amdhsa_system_sgpr_private_segment_wavefront_offset 0
		.amdhsa_system_sgpr_workgroup_id_x 1
		.amdhsa_system_sgpr_workgroup_id_y 0
		.amdhsa_system_sgpr_workgroup_id_z 0
		.amdhsa_system_sgpr_workgroup_info 0
		.amdhsa_system_vgpr_workitem_id 0
		.amdhsa_next_free_vgpr 19
		.amdhsa_next_free_sgpr 6
		.amdhsa_accum_offset 20
		.amdhsa_reserve_vcc 1
		.amdhsa_reserve_flat_scratch 0
		.amdhsa_float_round_mode_32 0
		.amdhsa_float_round_mode_16_64 0
		.amdhsa_float_denorm_mode_32 3
		.amdhsa_float_denorm_mode_16_64 3
		.amdhsa_dx10_clamp 1
		.amdhsa_ieee_mode 1
		.amdhsa_fp16_overflow 0
		.amdhsa_tg_split 0
		.amdhsa_exception_fp_ieee_invalid_op 0
		.amdhsa_exception_fp_denorm_src 0
		.amdhsa_exception_fp_ieee_div_zero 0
		.amdhsa_exception_fp_ieee_overflow 0
		.amdhsa_exception_fp_ieee_underflow 0
		.amdhsa_exception_fp_ieee_inexact 0
		.amdhsa_exception_int_div_zero 0
	.end_amdhsa_kernel
	.section	.text._Z20warp_exchange_kernelILj1024ELj4ELj16ELN6hipcub21WarpExchangeAlgorithmE1E18BlockedToStripedOpiEvPT4_S4_,"axG",@progbits,_Z20warp_exchange_kernelILj1024ELj4ELj16ELN6hipcub21WarpExchangeAlgorithmE1E18BlockedToStripedOpiEvPT4_S4_,comdat
.Lfunc_end148:
	.size	_Z20warp_exchange_kernelILj1024ELj4ELj16ELN6hipcub21WarpExchangeAlgorithmE1E18BlockedToStripedOpiEvPT4_S4_, .Lfunc_end148-_Z20warp_exchange_kernelILj1024ELj4ELj16ELN6hipcub21WarpExchangeAlgorithmE1E18BlockedToStripedOpiEvPT4_S4_
                                        ; -- End function
	.section	.AMDGPU.csdata,"",@progbits
; Kernel info:
; codeLenInByte = 316
; NumSgprs: 10
; NumVgprs: 19
; NumAgprs: 0
; TotalNumVgprs: 19
; ScratchSize: 0
; MemoryBound: 0
; FloatMode: 240
; IeeeMode: 1
; LDSByteSize: 0 bytes/workgroup (compile time only)
; SGPRBlocks: 1
; VGPRBlocks: 2
; NumSGPRsForWavesPerEU: 10
; NumVGPRsForWavesPerEU: 19
; AccumOffset: 20
; Occupancy: 8
; WaveLimiterHint : 0
; COMPUTE_PGM_RSRC2:SCRATCH_EN: 0
; COMPUTE_PGM_RSRC2:USER_SGPR: 6
; COMPUTE_PGM_RSRC2:TRAP_HANDLER: 0
; COMPUTE_PGM_RSRC2:TGID_X_EN: 1
; COMPUTE_PGM_RSRC2:TGID_Y_EN: 0
; COMPUTE_PGM_RSRC2:TGID_Z_EN: 0
; COMPUTE_PGM_RSRC2:TIDIG_COMP_CNT: 0
; COMPUTE_PGM_RSRC3_GFX90A:ACCUM_OFFSET: 4
; COMPUTE_PGM_RSRC3_GFX90A:TG_SPLIT: 0
	.section	.text._Z20warp_exchange_kernelILj1024ELj1ELj16ELN6hipcub21WarpExchangeAlgorithmE1E18BlockedToStripedOpiEvPT4_S4_,"axG",@progbits,_Z20warp_exchange_kernelILj1024ELj1ELj16ELN6hipcub21WarpExchangeAlgorithmE1E18BlockedToStripedOpiEvPT4_S4_,comdat
	.protected	_Z20warp_exchange_kernelILj1024ELj1ELj16ELN6hipcub21WarpExchangeAlgorithmE1E18BlockedToStripedOpiEvPT4_S4_ ; -- Begin function _Z20warp_exchange_kernelILj1024ELj1ELj16ELN6hipcub21WarpExchangeAlgorithmE1E18BlockedToStripedOpiEvPT4_S4_
	.globl	_Z20warp_exchange_kernelILj1024ELj1ELj16ELN6hipcub21WarpExchangeAlgorithmE1E18BlockedToStripedOpiEvPT4_S4_
	.p2align	8
	.type	_Z20warp_exchange_kernelILj1024ELj1ELj16ELN6hipcub21WarpExchangeAlgorithmE1E18BlockedToStripedOpiEvPT4_S4_,@function
_Z20warp_exchange_kernelILj1024ELj1ELj16ELN6hipcub21WarpExchangeAlgorithmE1E18BlockedToStripedOpiEvPT4_S4_: ; @_Z20warp_exchange_kernelILj1024ELj1ELj16ELN6hipcub21WarpExchangeAlgorithmE1E18BlockedToStripedOpiEvPT4_S4_
; %bb.0:
	s_load_dwordx4 s[0:3], s[4:5], 0x0
	v_lshlrev_b32_e32 v0, 2, v0
	v_mbcnt_lo_u32_b32 v2, -1, 0
	v_mbcnt_hi_u32_b32 v2, -1, v2
	v_lshlrev_b32_e32 v2, 2, v2
	s_waitcnt lgkmcnt(0)
	global_load_dword v1, v0, s[0:1]
	s_waitcnt vmcnt(0)
	ds_bpermute_b32 v1, v2, v1
	s_waitcnt lgkmcnt(0)
	global_store_dword v0, v1, s[2:3]
	s_endpgm
	.section	.rodata,"a",@progbits
	.p2align	6, 0x0
	.amdhsa_kernel _Z20warp_exchange_kernelILj1024ELj1ELj16ELN6hipcub21WarpExchangeAlgorithmE1E18BlockedToStripedOpiEvPT4_S4_
		.amdhsa_group_segment_fixed_size 0
		.amdhsa_private_segment_fixed_size 0
		.amdhsa_kernarg_size 16
		.amdhsa_user_sgpr_count 6
		.amdhsa_user_sgpr_private_segment_buffer 1
		.amdhsa_user_sgpr_dispatch_ptr 0
		.amdhsa_user_sgpr_queue_ptr 0
		.amdhsa_user_sgpr_kernarg_segment_ptr 1
		.amdhsa_user_sgpr_dispatch_id 0
		.amdhsa_user_sgpr_flat_scratch_init 0
		.amdhsa_user_sgpr_kernarg_preload_length 0
		.amdhsa_user_sgpr_kernarg_preload_offset 0
		.amdhsa_user_sgpr_private_segment_size 0
		.amdhsa_uses_dynamic_stack 0
		.amdhsa_system_sgpr_private_segment_wavefront_offset 0
		.amdhsa_system_sgpr_workgroup_id_x 1
		.amdhsa_system_sgpr_workgroup_id_y 0
		.amdhsa_system_sgpr_workgroup_id_z 0
		.amdhsa_system_sgpr_workgroup_info 0
		.amdhsa_system_vgpr_workitem_id 0
		.amdhsa_next_free_vgpr 3
		.amdhsa_next_free_sgpr 6
		.amdhsa_accum_offset 4
		.amdhsa_reserve_vcc 0
		.amdhsa_reserve_flat_scratch 0
		.amdhsa_float_round_mode_32 0
		.amdhsa_float_round_mode_16_64 0
		.amdhsa_float_denorm_mode_32 3
		.amdhsa_float_denorm_mode_16_64 3
		.amdhsa_dx10_clamp 1
		.amdhsa_ieee_mode 1
		.amdhsa_fp16_overflow 0
		.amdhsa_tg_split 0
		.amdhsa_exception_fp_ieee_invalid_op 0
		.amdhsa_exception_fp_denorm_src 0
		.amdhsa_exception_fp_ieee_div_zero 0
		.amdhsa_exception_fp_ieee_overflow 0
		.amdhsa_exception_fp_ieee_underflow 0
		.amdhsa_exception_fp_ieee_inexact 0
		.amdhsa_exception_int_div_zero 0
	.end_amdhsa_kernel
	.section	.text._Z20warp_exchange_kernelILj1024ELj1ELj16ELN6hipcub21WarpExchangeAlgorithmE1E18BlockedToStripedOpiEvPT4_S4_,"axG",@progbits,_Z20warp_exchange_kernelILj1024ELj1ELj16ELN6hipcub21WarpExchangeAlgorithmE1E18BlockedToStripedOpiEvPT4_S4_,comdat
.Lfunc_end149:
	.size	_Z20warp_exchange_kernelILj1024ELj1ELj16ELN6hipcub21WarpExchangeAlgorithmE1E18BlockedToStripedOpiEvPT4_S4_, .Lfunc_end149-_Z20warp_exchange_kernelILj1024ELj1ELj16ELN6hipcub21WarpExchangeAlgorithmE1E18BlockedToStripedOpiEvPT4_S4_
                                        ; -- End function
	.section	.AMDGPU.csdata,"",@progbits
; Kernel info:
; codeLenInByte = 72
; NumSgprs: 10
; NumVgprs: 3
; NumAgprs: 0
; TotalNumVgprs: 3
; ScratchSize: 0
; MemoryBound: 0
; FloatMode: 240
; IeeeMode: 1
; LDSByteSize: 0 bytes/workgroup (compile time only)
; SGPRBlocks: 1
; VGPRBlocks: 0
; NumSGPRsForWavesPerEU: 10
; NumVGPRsForWavesPerEU: 3
; AccumOffset: 4
; Occupancy: 8
; WaveLimiterHint : 0
; COMPUTE_PGM_RSRC2:SCRATCH_EN: 0
; COMPUTE_PGM_RSRC2:USER_SGPR: 6
; COMPUTE_PGM_RSRC2:TRAP_HANDLER: 0
; COMPUTE_PGM_RSRC2:TGID_X_EN: 1
; COMPUTE_PGM_RSRC2:TGID_Y_EN: 0
; COMPUTE_PGM_RSRC2:TGID_Z_EN: 0
; COMPUTE_PGM_RSRC2:TIDIG_COMP_CNT: 0
; COMPUTE_PGM_RSRC3_GFX90A:ACCUM_OFFSET: 0
; COMPUTE_PGM_RSRC3_GFX90A:TG_SPLIT: 0
	.section	.text._Z20warp_exchange_kernelILj1024ELj4ELj8ELN6hipcub21WarpExchangeAlgorithmE1E18BlockedToStripedOpiEvPT4_S4_,"axG",@progbits,_Z20warp_exchange_kernelILj1024ELj4ELj8ELN6hipcub21WarpExchangeAlgorithmE1E18BlockedToStripedOpiEvPT4_S4_,comdat
	.protected	_Z20warp_exchange_kernelILj1024ELj4ELj8ELN6hipcub21WarpExchangeAlgorithmE1E18BlockedToStripedOpiEvPT4_S4_ ; -- Begin function _Z20warp_exchange_kernelILj1024ELj4ELj8ELN6hipcub21WarpExchangeAlgorithmE1E18BlockedToStripedOpiEvPT4_S4_
	.globl	_Z20warp_exchange_kernelILj1024ELj4ELj8ELN6hipcub21WarpExchangeAlgorithmE1E18BlockedToStripedOpiEvPT4_S4_
	.p2align	8
	.type	_Z20warp_exchange_kernelILj1024ELj4ELj8ELN6hipcub21WarpExchangeAlgorithmE1E18BlockedToStripedOpiEvPT4_S4_,@function
_Z20warp_exchange_kernelILj1024ELj4ELj8ELN6hipcub21WarpExchangeAlgorithmE1E18BlockedToStripedOpiEvPT4_S4_: ; @_Z20warp_exchange_kernelILj1024ELj4ELj8ELN6hipcub21WarpExchangeAlgorithmE1E18BlockedToStripedOpiEvPT4_S4_
; %bb.0:
	s_load_dwordx4 s[0:3], s[4:5], 0x0
	v_lshlrev_b32_e32 v4, 4, v0
	v_mbcnt_lo_u32_b32 v5, -1, 0
	v_mbcnt_hi_u32_b32 v5, -1, v5
	v_and_b32_e32 v6, 3, v5
	s_waitcnt lgkmcnt(0)
	global_load_dwordx4 v[0:3], v4, s[0:1]
	s_movk_i32 s0, 0x1e0
	v_lshlrev_b32_e32 v7, 2, v5
	v_and_b32_e32 v5, 4, v5
	v_and_or_b32 v5, v7, s0, v5
	v_cmp_eq_u32_e32 vcc, 1, v6
	s_waitcnt vmcnt(0)
	ds_bpermute_b32 v7, v5, v0
	ds_bpermute_b32 v8, v5, v1
	ds_bpermute_b32 v11, v5, v0 offset:8
	ds_bpermute_b32 v12, v5, v1 offset:8
	;; [unrolled: 1-line block ×6, first 2 shown]
	ds_bpermute_b32 v9, v5, v2
	ds_bpermute_b32 v13, v5, v2 offset:8
	ds_bpermute_b32 v17, v5, v2 offset:16
	ds_bpermute_b32 v2, v5, v2 offset:24
	ds_bpermute_b32 v10, v5, v3
	ds_bpermute_b32 v14, v5, v3 offset:8
	ds_bpermute_b32 v18, v5, v3 offset:16
	;; [unrolled: 1-line block ×3, first 2 shown]
	s_waitcnt lgkmcnt(14)
	v_cndmask_b32_e32 v5, v7, v8, vcc
	s_waitcnt lgkmcnt(12)
	v_cndmask_b32_e32 v7, v11, v12, vcc
	;; [unrolled: 2-line block ×4, first 2 shown]
	v_cmp_eq_u32_e32 vcc, 2, v6
	s_waitcnt lgkmcnt(7)
	v_cndmask_b32_e32 v1, v5, v9, vcc
	s_waitcnt lgkmcnt(6)
	v_cndmask_b32_e32 v5, v7, v13, vcc
	;; [unrolled: 2-line block ×4, first 2 shown]
	v_cmp_eq_u32_e32 vcc, 3, v6
	s_waitcnt lgkmcnt(3)
	v_cndmask_b32_e32 v0, v1, v10, vcc
	s_waitcnt lgkmcnt(2)
	v_cndmask_b32_e32 v1, v5, v14, vcc
	s_waitcnt lgkmcnt(1)
	v_cndmask_b32_e32 v2, v7, v18, vcc
	s_waitcnt lgkmcnt(0)
	v_cndmask_b32_e32 v3, v8, v3, vcc
	global_store_dwordx4 v4, v[0:3], s[2:3]
	s_endpgm
	.section	.rodata,"a",@progbits
	.p2align	6, 0x0
	.amdhsa_kernel _Z20warp_exchange_kernelILj1024ELj4ELj8ELN6hipcub21WarpExchangeAlgorithmE1E18BlockedToStripedOpiEvPT4_S4_
		.amdhsa_group_segment_fixed_size 0
		.amdhsa_private_segment_fixed_size 0
		.amdhsa_kernarg_size 16
		.amdhsa_user_sgpr_count 6
		.amdhsa_user_sgpr_private_segment_buffer 1
		.amdhsa_user_sgpr_dispatch_ptr 0
		.amdhsa_user_sgpr_queue_ptr 0
		.amdhsa_user_sgpr_kernarg_segment_ptr 1
		.amdhsa_user_sgpr_dispatch_id 0
		.amdhsa_user_sgpr_flat_scratch_init 0
		.amdhsa_user_sgpr_kernarg_preload_length 0
		.amdhsa_user_sgpr_kernarg_preload_offset 0
		.amdhsa_user_sgpr_private_segment_size 0
		.amdhsa_uses_dynamic_stack 0
		.amdhsa_system_sgpr_private_segment_wavefront_offset 0
		.amdhsa_system_sgpr_workgroup_id_x 1
		.amdhsa_system_sgpr_workgroup_id_y 0
		.amdhsa_system_sgpr_workgroup_id_z 0
		.amdhsa_system_sgpr_workgroup_info 0
		.amdhsa_system_vgpr_workitem_id 0
		.amdhsa_next_free_vgpr 19
		.amdhsa_next_free_sgpr 6
		.amdhsa_accum_offset 20
		.amdhsa_reserve_vcc 1
		.amdhsa_reserve_flat_scratch 0
		.amdhsa_float_round_mode_32 0
		.amdhsa_float_round_mode_16_64 0
		.amdhsa_float_denorm_mode_32 3
		.amdhsa_float_denorm_mode_16_64 3
		.amdhsa_dx10_clamp 1
		.amdhsa_ieee_mode 1
		.amdhsa_fp16_overflow 0
		.amdhsa_tg_split 0
		.amdhsa_exception_fp_ieee_invalid_op 0
		.amdhsa_exception_fp_denorm_src 0
		.amdhsa_exception_fp_ieee_div_zero 0
		.amdhsa_exception_fp_ieee_overflow 0
		.amdhsa_exception_fp_ieee_underflow 0
		.amdhsa_exception_fp_ieee_inexact 0
		.amdhsa_exception_int_div_zero 0
	.end_amdhsa_kernel
	.section	.text._Z20warp_exchange_kernelILj1024ELj4ELj8ELN6hipcub21WarpExchangeAlgorithmE1E18BlockedToStripedOpiEvPT4_S4_,"axG",@progbits,_Z20warp_exchange_kernelILj1024ELj4ELj8ELN6hipcub21WarpExchangeAlgorithmE1E18BlockedToStripedOpiEvPT4_S4_,comdat
.Lfunc_end150:
	.size	_Z20warp_exchange_kernelILj1024ELj4ELj8ELN6hipcub21WarpExchangeAlgorithmE1E18BlockedToStripedOpiEvPT4_S4_, .Lfunc_end150-_Z20warp_exchange_kernelILj1024ELj4ELj8ELN6hipcub21WarpExchangeAlgorithmE1E18BlockedToStripedOpiEvPT4_S4_
                                        ; -- End function
	.section	.AMDGPU.csdata,"",@progbits
; Kernel info:
; codeLenInByte = 316
; NumSgprs: 10
; NumVgprs: 19
; NumAgprs: 0
; TotalNumVgprs: 19
; ScratchSize: 0
; MemoryBound: 0
; FloatMode: 240
; IeeeMode: 1
; LDSByteSize: 0 bytes/workgroup (compile time only)
; SGPRBlocks: 1
; VGPRBlocks: 2
; NumSGPRsForWavesPerEU: 10
; NumVGPRsForWavesPerEU: 19
; AccumOffset: 20
; Occupancy: 8
; WaveLimiterHint : 0
; COMPUTE_PGM_RSRC2:SCRATCH_EN: 0
; COMPUTE_PGM_RSRC2:USER_SGPR: 6
; COMPUTE_PGM_RSRC2:TRAP_HANDLER: 0
; COMPUTE_PGM_RSRC2:TGID_X_EN: 1
; COMPUTE_PGM_RSRC2:TGID_Y_EN: 0
; COMPUTE_PGM_RSRC2:TGID_Z_EN: 0
; COMPUTE_PGM_RSRC2:TIDIG_COMP_CNT: 0
; COMPUTE_PGM_RSRC3_GFX90A:ACCUM_OFFSET: 4
; COMPUTE_PGM_RSRC3_GFX90A:TG_SPLIT: 0
	.section	.text._Z20warp_exchange_kernelILj1024ELj1ELj8ELN6hipcub21WarpExchangeAlgorithmE1E18BlockedToStripedOpiEvPT4_S4_,"axG",@progbits,_Z20warp_exchange_kernelILj1024ELj1ELj8ELN6hipcub21WarpExchangeAlgorithmE1E18BlockedToStripedOpiEvPT4_S4_,comdat
	.protected	_Z20warp_exchange_kernelILj1024ELj1ELj8ELN6hipcub21WarpExchangeAlgorithmE1E18BlockedToStripedOpiEvPT4_S4_ ; -- Begin function _Z20warp_exchange_kernelILj1024ELj1ELj8ELN6hipcub21WarpExchangeAlgorithmE1E18BlockedToStripedOpiEvPT4_S4_
	.globl	_Z20warp_exchange_kernelILj1024ELj1ELj8ELN6hipcub21WarpExchangeAlgorithmE1E18BlockedToStripedOpiEvPT4_S4_
	.p2align	8
	.type	_Z20warp_exchange_kernelILj1024ELj1ELj8ELN6hipcub21WarpExchangeAlgorithmE1E18BlockedToStripedOpiEvPT4_S4_,@function
_Z20warp_exchange_kernelILj1024ELj1ELj8ELN6hipcub21WarpExchangeAlgorithmE1E18BlockedToStripedOpiEvPT4_S4_: ; @_Z20warp_exchange_kernelILj1024ELj1ELj8ELN6hipcub21WarpExchangeAlgorithmE1E18BlockedToStripedOpiEvPT4_S4_
; %bb.0:
	s_load_dwordx4 s[0:3], s[4:5], 0x0
	v_lshlrev_b32_e32 v0, 2, v0
	v_mbcnt_lo_u32_b32 v2, -1, 0
	v_mbcnt_hi_u32_b32 v2, -1, v2
	v_lshlrev_b32_e32 v2, 2, v2
	s_waitcnt lgkmcnt(0)
	global_load_dword v1, v0, s[0:1]
	s_waitcnt vmcnt(0)
	ds_bpermute_b32 v1, v2, v1
	s_waitcnt lgkmcnt(0)
	global_store_dword v0, v1, s[2:3]
	s_endpgm
	.section	.rodata,"a",@progbits
	.p2align	6, 0x0
	.amdhsa_kernel _Z20warp_exchange_kernelILj1024ELj1ELj8ELN6hipcub21WarpExchangeAlgorithmE1E18BlockedToStripedOpiEvPT4_S4_
		.amdhsa_group_segment_fixed_size 0
		.amdhsa_private_segment_fixed_size 0
		.amdhsa_kernarg_size 16
		.amdhsa_user_sgpr_count 6
		.amdhsa_user_sgpr_private_segment_buffer 1
		.amdhsa_user_sgpr_dispatch_ptr 0
		.amdhsa_user_sgpr_queue_ptr 0
		.amdhsa_user_sgpr_kernarg_segment_ptr 1
		.amdhsa_user_sgpr_dispatch_id 0
		.amdhsa_user_sgpr_flat_scratch_init 0
		.amdhsa_user_sgpr_kernarg_preload_length 0
		.amdhsa_user_sgpr_kernarg_preload_offset 0
		.amdhsa_user_sgpr_private_segment_size 0
		.amdhsa_uses_dynamic_stack 0
		.amdhsa_system_sgpr_private_segment_wavefront_offset 0
		.amdhsa_system_sgpr_workgroup_id_x 1
		.amdhsa_system_sgpr_workgroup_id_y 0
		.amdhsa_system_sgpr_workgroup_id_z 0
		.amdhsa_system_sgpr_workgroup_info 0
		.amdhsa_system_vgpr_workitem_id 0
		.amdhsa_next_free_vgpr 3
		.amdhsa_next_free_sgpr 6
		.amdhsa_accum_offset 4
		.amdhsa_reserve_vcc 0
		.amdhsa_reserve_flat_scratch 0
		.amdhsa_float_round_mode_32 0
		.amdhsa_float_round_mode_16_64 0
		.amdhsa_float_denorm_mode_32 3
		.amdhsa_float_denorm_mode_16_64 3
		.amdhsa_dx10_clamp 1
		.amdhsa_ieee_mode 1
		.amdhsa_fp16_overflow 0
		.amdhsa_tg_split 0
		.amdhsa_exception_fp_ieee_invalid_op 0
		.amdhsa_exception_fp_denorm_src 0
		.amdhsa_exception_fp_ieee_div_zero 0
		.amdhsa_exception_fp_ieee_overflow 0
		.amdhsa_exception_fp_ieee_underflow 0
		.amdhsa_exception_fp_ieee_inexact 0
		.amdhsa_exception_int_div_zero 0
	.end_amdhsa_kernel
	.section	.text._Z20warp_exchange_kernelILj1024ELj1ELj8ELN6hipcub21WarpExchangeAlgorithmE1E18BlockedToStripedOpiEvPT4_S4_,"axG",@progbits,_Z20warp_exchange_kernelILj1024ELj1ELj8ELN6hipcub21WarpExchangeAlgorithmE1E18BlockedToStripedOpiEvPT4_S4_,comdat
.Lfunc_end151:
	.size	_Z20warp_exchange_kernelILj1024ELj1ELj8ELN6hipcub21WarpExchangeAlgorithmE1E18BlockedToStripedOpiEvPT4_S4_, .Lfunc_end151-_Z20warp_exchange_kernelILj1024ELj1ELj8ELN6hipcub21WarpExchangeAlgorithmE1E18BlockedToStripedOpiEvPT4_S4_
                                        ; -- End function
	.section	.AMDGPU.csdata,"",@progbits
; Kernel info:
; codeLenInByte = 72
; NumSgprs: 10
; NumVgprs: 3
; NumAgprs: 0
; TotalNumVgprs: 3
; ScratchSize: 0
; MemoryBound: 0
; FloatMode: 240
; IeeeMode: 1
; LDSByteSize: 0 bytes/workgroup (compile time only)
; SGPRBlocks: 1
; VGPRBlocks: 0
; NumSGPRsForWavesPerEU: 10
; NumVGPRsForWavesPerEU: 3
; AccumOffset: 4
; Occupancy: 8
; WaveLimiterHint : 0
; COMPUTE_PGM_RSRC2:SCRATCH_EN: 0
; COMPUTE_PGM_RSRC2:USER_SGPR: 6
; COMPUTE_PGM_RSRC2:TRAP_HANDLER: 0
; COMPUTE_PGM_RSRC2:TGID_X_EN: 1
; COMPUTE_PGM_RSRC2:TGID_Y_EN: 0
; COMPUTE_PGM_RSRC2:TGID_Z_EN: 0
; COMPUTE_PGM_RSRC2:TIDIG_COMP_CNT: 0
; COMPUTE_PGM_RSRC3_GFX90A:ACCUM_OFFSET: 0
; COMPUTE_PGM_RSRC3_GFX90A:TG_SPLIT: 0
	.section	.text._Z20warp_exchange_kernelILj1024ELj4ELj64ELN6hipcub21WarpExchangeAlgorithmE1E18BlockedToStripedOpcEvPT4_S4_,"axG",@progbits,_Z20warp_exchange_kernelILj1024ELj4ELj64ELN6hipcub21WarpExchangeAlgorithmE1E18BlockedToStripedOpcEvPT4_S4_,comdat
	.protected	_Z20warp_exchange_kernelILj1024ELj4ELj64ELN6hipcub21WarpExchangeAlgorithmE1E18BlockedToStripedOpcEvPT4_S4_ ; -- Begin function _Z20warp_exchange_kernelILj1024ELj4ELj64ELN6hipcub21WarpExchangeAlgorithmE1E18BlockedToStripedOpcEvPT4_S4_
	.globl	_Z20warp_exchange_kernelILj1024ELj4ELj64ELN6hipcub21WarpExchangeAlgorithmE1E18BlockedToStripedOpcEvPT4_S4_
	.p2align	8
	.type	_Z20warp_exchange_kernelILj1024ELj4ELj64ELN6hipcub21WarpExchangeAlgorithmE1E18BlockedToStripedOpcEvPT4_S4_,@function
_Z20warp_exchange_kernelILj1024ELj4ELj64ELN6hipcub21WarpExchangeAlgorithmE1E18BlockedToStripedOpcEvPT4_S4_: ; @_Z20warp_exchange_kernelILj1024ELj4ELj64ELN6hipcub21WarpExchangeAlgorithmE1E18BlockedToStripedOpcEvPT4_S4_
; %bb.0:
	s_load_dwordx4 s[4:7], s[4:5], 0x0
	v_lshlrev_b32_e32 v0, 2, v0
	v_mbcnt_lo_u32_b32 v2, -1, 0
	v_mbcnt_hi_u32_b32 v2, -1, v2
	v_lshrrev_b32_e32 v3, 2, v2
	s_waitcnt lgkmcnt(0)
	global_load_dword v1, v0, s[4:5]
	v_and_b32_e32 v4, 64, v2
	v_or_b32_e32 v5, v3, v4
	v_lshlrev_b32_e32 v5, 2, v5
	v_add_u32_e32 v3, 48, v3
	v_and_or_b32 v3, v3, 63, v4
	s_mov_b32 s2, 0x3020104
	v_and_b32_e32 v2, 3, v2
	v_lshlrev_b32_e32 v3, 2, v3
	v_cmp_eq_u32_e32 vcc, 1, v2
	v_cmp_eq_u32_e64 s[0:1], 2, v2
	s_mov_b32 s10, 0xffff0000
	v_cmp_eq_u32_e64 s[4:5], 0, v2
	s_movk_i32 s11, 0xff00
	s_mov_b32 s9, 0xffff
	s_movk_i32 s8, 0xff
	s_waitcnt vmcnt(0)
	v_and_b32_e32 v6, 0xff, v1
	v_bfe_u32 v7, v1, 8, 8
	ds_bpermute_b32 v8, v5, v6
	ds_bpermute_b32 v9, v5, v7
	v_lshrrev_b32_e32 v4, 24, v1
	v_bfe_u32 v1, v1, 16, 8
	ds_bpermute_b32 v10, v5, v1
	ds_bpermute_b32 v11, v5, v4
	ds_bpermute_b32 v12, v5, v6 offset:64
	ds_bpermute_b32 v13, v5, v7 offset:64
	;; [unrolled: 1-line block ×8, first 2 shown]
	ds_bpermute_b32 v6, v3, v6
	ds_bpermute_b32 v7, v3, v7
	ds_bpermute_b32 v1, v3, v1
	ds_bpermute_b32 v3, v3, v4
	s_waitcnt lgkmcnt(14)
	v_perm_b32 v4, v9, v8, s2
	v_cndmask_b32_e32 v4, v8, v4, vcc
	s_waitcnt lgkmcnt(13)
	v_perm_b32 v8, v10, v4, s2
	v_cndmask_b32_e64 v4, v4, v8, s[0:1]
	s_waitcnt lgkmcnt(12)
	v_perm_b32 v8, v11, v4, s2
	v_cmp_eq_u32_e64 s[2:3], 3, v2
	s_waitcnt lgkmcnt(11)
	v_lshlrev_b16_e32 v9, 8, v12
	v_cndmask_b32_e64 v4, v4, v8, s[2:3]
	v_or_b32_sdwa v8, v4, v9 dst_sel:DWORD dst_unused:UNUSED_PAD src0_sel:BYTE_0 src1_sel:DWORD
	v_and_b32_e32 v8, 0xffff, v8
	v_and_or_b32 v8, v4, s10, v8
	s_waitcnt lgkmcnt(10)
	v_lshlrev_b16_e32 v12, 8, v13
	v_cndmask_b32_e64 v2, v4, v8, s[4:5]
	v_or_b32_sdwa v4, v2, v12 dst_sel:DWORD dst_unused:UNUSED_PAD src0_sel:BYTE_0 src1_sel:DWORD
	v_and_b32_e32 v4, 0xffff, v4
	v_and_or_b32 v4, v2, s10, v4
	s_waitcnt lgkmcnt(9)
	v_lshlrev_b16_e32 v13, 8, v14
	v_cndmask_b32_e32 v2, v2, v4, vcc
	v_or_b32_sdwa v4, v2, v13 dst_sel:DWORD dst_unused:UNUSED_PAD src0_sel:BYTE_0 src1_sel:DWORD
	v_and_b32_e32 v4, 0xffff, v4
	v_and_or_b32 v4, v2, s10, v4
	s_waitcnt lgkmcnt(8)
	v_lshlrev_b16_e32 v14, 8, v15
	v_cndmask_b32_e64 v2, v2, v4, s[0:1]
	v_or_b32_sdwa v4, v2, v14 dst_sel:DWORD dst_unused:UNUSED_PAD src0_sel:BYTE_0 src1_sel:DWORD
	v_and_b32_e32 v4, 0xffff, v4
	v_and_or_b32 v4, v2, s10, v4
	v_cndmask_b32_e64 v2, v2, v4, s[2:3]
	v_and_b32_sdwa v4, v2, s11 dst_sel:DWORD dst_unused:UNUSED_PAD src0_sel:WORD_1 src1_sel:DWORD
	s_waitcnt lgkmcnt(7)
	v_or_b32_sdwa v4, v16, v4 dst_sel:WORD_1 dst_unused:UNUSED_PAD src0_sel:BYTE_0 src1_sel:DWORD
	v_and_or_b32 v4, v2, s9, v4
	v_cndmask_b32_e64 v2, v2, v4, s[4:5]
	v_and_b32_sdwa v4, v2, s11 dst_sel:DWORD dst_unused:UNUSED_PAD src0_sel:WORD_1 src1_sel:DWORD
	s_waitcnt lgkmcnt(6)
	v_or_b32_sdwa v4, v17, v4 dst_sel:WORD_1 dst_unused:UNUSED_PAD src0_sel:BYTE_0 src1_sel:DWORD
	v_and_or_b32 v4, v2, s9, v4
	v_cndmask_b32_e32 v2, v2, v4, vcc
	v_and_b32_sdwa v4, v2, s11 dst_sel:DWORD dst_unused:UNUSED_PAD src0_sel:WORD_1 src1_sel:DWORD
	s_waitcnt lgkmcnt(5)
	v_or_b32_sdwa v4, v18, v4 dst_sel:WORD_1 dst_unused:UNUSED_PAD src0_sel:BYTE_0 src1_sel:DWORD
	v_and_or_b32 v4, v2, s9, v4
	v_cndmask_b32_e64 v2, v2, v4, s[0:1]
	v_and_b32_sdwa v4, v2, s11 dst_sel:DWORD dst_unused:UNUSED_PAD src0_sel:WORD_1 src1_sel:DWORD
	s_waitcnt lgkmcnt(4)
	v_or_b32_sdwa v4, v5, v4 dst_sel:WORD_1 dst_unused:UNUSED_PAD src0_sel:BYTE_0 src1_sel:DWORD
	v_and_or_b32 v4, v2, s9, v4
	v_cndmask_b32_e64 v2, v2, v4, s[2:3]
	s_waitcnt lgkmcnt(3)
	v_lshlrev_b16_e32 v6, 8, v6
	v_and_b32_sdwa v4, v2, s8 dst_sel:DWORD dst_unused:UNUSED_PAD src0_sel:WORD_1 src1_sel:DWORD
	v_or_b32_sdwa v4, v4, v6 dst_sel:WORD_1 dst_unused:UNUSED_PAD src0_sel:DWORD src1_sel:DWORD
	v_and_or_b32 v4, v2, s9, v4
	v_cndmask_b32_e64 v2, v2, v4, s[4:5]
	s_waitcnt lgkmcnt(2)
	v_lshlrev_b16_e32 v7, 8, v7
	v_and_b32_sdwa v4, v2, s8 dst_sel:DWORD dst_unused:UNUSED_PAD src0_sel:WORD_1 src1_sel:DWORD
	v_or_b32_sdwa v4, v4, v7 dst_sel:WORD_1 dst_unused:UNUSED_PAD src0_sel:DWORD src1_sel:DWORD
	v_and_or_b32 v4, v2, s9, v4
	v_cndmask_b32_e32 v2, v2, v4, vcc
	s_waitcnt lgkmcnt(1)
	v_lshlrev_b16_e32 v1, 8, v1
	v_and_b32_sdwa v4, v2, s8 dst_sel:DWORD dst_unused:UNUSED_PAD src0_sel:WORD_1 src1_sel:DWORD
	v_or_b32_sdwa v1, v4, v1 dst_sel:WORD_1 dst_unused:UNUSED_PAD src0_sel:DWORD src1_sel:DWORD
	v_and_or_b32 v1, v2, s9, v1
	v_cndmask_b32_e64 v1, v2, v1, s[0:1]
	v_and_b32_sdwa v2, v1, s8 dst_sel:DWORD dst_unused:UNUSED_PAD src0_sel:WORD_1 src1_sel:DWORD
	s_waitcnt lgkmcnt(0)
	v_lshlrev_b16_e32 v3, 8, v3
	v_or_b32_sdwa v2, v2, v3 dst_sel:WORD_1 dst_unused:UNUSED_PAD src0_sel:DWORD src1_sel:DWORD
	v_and_or_b32 v2, v1, s9, v2
	v_cndmask_b32_e64 v1, v1, v2, s[2:3]
	global_store_dword v0, v1, s[6:7]
	s_endpgm
	.section	.rodata,"a",@progbits
	.p2align	6, 0x0
	.amdhsa_kernel _Z20warp_exchange_kernelILj1024ELj4ELj64ELN6hipcub21WarpExchangeAlgorithmE1E18BlockedToStripedOpcEvPT4_S4_
		.amdhsa_group_segment_fixed_size 0
		.amdhsa_private_segment_fixed_size 0
		.amdhsa_kernarg_size 16
		.amdhsa_user_sgpr_count 6
		.amdhsa_user_sgpr_private_segment_buffer 1
		.amdhsa_user_sgpr_dispatch_ptr 0
		.amdhsa_user_sgpr_queue_ptr 0
		.amdhsa_user_sgpr_kernarg_segment_ptr 1
		.amdhsa_user_sgpr_dispatch_id 0
		.amdhsa_user_sgpr_flat_scratch_init 0
		.amdhsa_user_sgpr_kernarg_preload_length 0
		.amdhsa_user_sgpr_kernarg_preload_offset 0
		.amdhsa_user_sgpr_private_segment_size 0
		.amdhsa_uses_dynamic_stack 0
		.amdhsa_system_sgpr_private_segment_wavefront_offset 0
		.amdhsa_system_sgpr_workgroup_id_x 1
		.amdhsa_system_sgpr_workgroup_id_y 0
		.amdhsa_system_sgpr_workgroup_id_z 0
		.amdhsa_system_sgpr_workgroup_info 0
		.amdhsa_system_vgpr_workitem_id 0
		.amdhsa_next_free_vgpr 19
		.amdhsa_next_free_sgpr 12
		.amdhsa_accum_offset 20
		.amdhsa_reserve_vcc 1
		.amdhsa_reserve_flat_scratch 0
		.amdhsa_float_round_mode_32 0
		.amdhsa_float_round_mode_16_64 0
		.amdhsa_float_denorm_mode_32 3
		.amdhsa_float_denorm_mode_16_64 3
		.amdhsa_dx10_clamp 1
		.amdhsa_ieee_mode 1
		.amdhsa_fp16_overflow 0
		.amdhsa_tg_split 0
		.amdhsa_exception_fp_ieee_invalid_op 0
		.amdhsa_exception_fp_denorm_src 0
		.amdhsa_exception_fp_ieee_div_zero 0
		.amdhsa_exception_fp_ieee_overflow 0
		.amdhsa_exception_fp_ieee_underflow 0
		.amdhsa_exception_fp_ieee_inexact 0
		.amdhsa_exception_int_div_zero 0
	.end_amdhsa_kernel
	.section	.text._Z20warp_exchange_kernelILj1024ELj4ELj64ELN6hipcub21WarpExchangeAlgorithmE1E18BlockedToStripedOpcEvPT4_S4_,"axG",@progbits,_Z20warp_exchange_kernelILj1024ELj4ELj64ELN6hipcub21WarpExchangeAlgorithmE1E18BlockedToStripedOpcEvPT4_S4_,comdat
.Lfunc_end152:
	.size	_Z20warp_exchange_kernelILj1024ELj4ELj64ELN6hipcub21WarpExchangeAlgorithmE1E18BlockedToStripedOpcEvPT4_S4_, .Lfunc_end152-_Z20warp_exchange_kernelILj1024ELj4ELj64ELN6hipcub21WarpExchangeAlgorithmE1E18BlockedToStripedOpcEvPT4_S4_
                                        ; -- End function
	.section	.AMDGPU.csdata,"",@progbits
; Kernel info:
; codeLenInByte = 816
; NumSgprs: 16
; NumVgprs: 19
; NumAgprs: 0
; TotalNumVgprs: 19
; ScratchSize: 0
; MemoryBound: 0
; FloatMode: 240
; IeeeMode: 1
; LDSByteSize: 0 bytes/workgroup (compile time only)
; SGPRBlocks: 1
; VGPRBlocks: 2
; NumSGPRsForWavesPerEU: 16
; NumVGPRsForWavesPerEU: 19
; AccumOffset: 20
; Occupancy: 8
; WaveLimiterHint : 0
; COMPUTE_PGM_RSRC2:SCRATCH_EN: 0
; COMPUTE_PGM_RSRC2:USER_SGPR: 6
; COMPUTE_PGM_RSRC2:TRAP_HANDLER: 0
; COMPUTE_PGM_RSRC2:TGID_X_EN: 1
; COMPUTE_PGM_RSRC2:TGID_Y_EN: 0
; COMPUTE_PGM_RSRC2:TGID_Z_EN: 0
; COMPUTE_PGM_RSRC2:TIDIG_COMP_CNT: 0
; COMPUTE_PGM_RSRC3_GFX90A:ACCUM_OFFSET: 4
; COMPUTE_PGM_RSRC3_GFX90A:TG_SPLIT: 0
	.section	.text._Z20warp_exchange_kernelILj1024ELj1ELj64ELN6hipcub21WarpExchangeAlgorithmE1E18BlockedToStripedOpcEvPT4_S4_,"axG",@progbits,_Z20warp_exchange_kernelILj1024ELj1ELj64ELN6hipcub21WarpExchangeAlgorithmE1E18BlockedToStripedOpcEvPT4_S4_,comdat
	.protected	_Z20warp_exchange_kernelILj1024ELj1ELj64ELN6hipcub21WarpExchangeAlgorithmE1E18BlockedToStripedOpcEvPT4_S4_ ; -- Begin function _Z20warp_exchange_kernelILj1024ELj1ELj64ELN6hipcub21WarpExchangeAlgorithmE1E18BlockedToStripedOpcEvPT4_S4_
	.globl	_Z20warp_exchange_kernelILj1024ELj1ELj64ELN6hipcub21WarpExchangeAlgorithmE1E18BlockedToStripedOpcEvPT4_S4_
	.p2align	8
	.type	_Z20warp_exchange_kernelILj1024ELj1ELj64ELN6hipcub21WarpExchangeAlgorithmE1E18BlockedToStripedOpcEvPT4_S4_,@function
_Z20warp_exchange_kernelILj1024ELj1ELj64ELN6hipcub21WarpExchangeAlgorithmE1E18BlockedToStripedOpcEvPT4_S4_: ; @_Z20warp_exchange_kernelILj1024ELj1ELj64ELN6hipcub21WarpExchangeAlgorithmE1E18BlockedToStripedOpcEvPT4_S4_
; %bb.0:
	s_load_dwordx4 s[0:3], s[4:5], 0x0
	v_mbcnt_lo_u32_b32 v2, -1, 0
	v_mbcnt_hi_u32_b32 v2, -1, v2
	v_lshlrev_b32_e32 v2, 2, v2
	s_waitcnt lgkmcnt(0)
	global_load_ubyte v1, v0, s[0:1]
	s_waitcnt vmcnt(0)
	ds_bpermute_b32 v1, v2, v1
	s_waitcnt lgkmcnt(0)
	global_store_byte v0, v1, s[2:3]
	s_endpgm
	.section	.rodata,"a",@progbits
	.p2align	6, 0x0
	.amdhsa_kernel _Z20warp_exchange_kernelILj1024ELj1ELj64ELN6hipcub21WarpExchangeAlgorithmE1E18BlockedToStripedOpcEvPT4_S4_
		.amdhsa_group_segment_fixed_size 0
		.amdhsa_private_segment_fixed_size 0
		.amdhsa_kernarg_size 16
		.amdhsa_user_sgpr_count 6
		.amdhsa_user_sgpr_private_segment_buffer 1
		.amdhsa_user_sgpr_dispatch_ptr 0
		.amdhsa_user_sgpr_queue_ptr 0
		.amdhsa_user_sgpr_kernarg_segment_ptr 1
		.amdhsa_user_sgpr_dispatch_id 0
		.amdhsa_user_sgpr_flat_scratch_init 0
		.amdhsa_user_sgpr_kernarg_preload_length 0
		.amdhsa_user_sgpr_kernarg_preload_offset 0
		.amdhsa_user_sgpr_private_segment_size 0
		.amdhsa_uses_dynamic_stack 0
		.amdhsa_system_sgpr_private_segment_wavefront_offset 0
		.amdhsa_system_sgpr_workgroup_id_x 1
		.amdhsa_system_sgpr_workgroup_id_y 0
		.amdhsa_system_sgpr_workgroup_id_z 0
		.amdhsa_system_sgpr_workgroup_info 0
		.amdhsa_system_vgpr_workitem_id 0
		.amdhsa_next_free_vgpr 3
		.amdhsa_next_free_sgpr 6
		.amdhsa_accum_offset 4
		.amdhsa_reserve_vcc 0
		.amdhsa_reserve_flat_scratch 0
		.amdhsa_float_round_mode_32 0
		.amdhsa_float_round_mode_16_64 0
		.amdhsa_float_denorm_mode_32 3
		.amdhsa_float_denorm_mode_16_64 3
		.amdhsa_dx10_clamp 1
		.amdhsa_ieee_mode 1
		.amdhsa_fp16_overflow 0
		.amdhsa_tg_split 0
		.amdhsa_exception_fp_ieee_invalid_op 0
		.amdhsa_exception_fp_denorm_src 0
		.amdhsa_exception_fp_ieee_div_zero 0
		.amdhsa_exception_fp_ieee_overflow 0
		.amdhsa_exception_fp_ieee_underflow 0
		.amdhsa_exception_fp_ieee_inexact 0
		.amdhsa_exception_int_div_zero 0
	.end_amdhsa_kernel
	.section	.text._Z20warp_exchange_kernelILj1024ELj1ELj64ELN6hipcub21WarpExchangeAlgorithmE1E18BlockedToStripedOpcEvPT4_S4_,"axG",@progbits,_Z20warp_exchange_kernelILj1024ELj1ELj64ELN6hipcub21WarpExchangeAlgorithmE1E18BlockedToStripedOpcEvPT4_S4_,comdat
.Lfunc_end153:
	.size	_Z20warp_exchange_kernelILj1024ELj1ELj64ELN6hipcub21WarpExchangeAlgorithmE1E18BlockedToStripedOpcEvPT4_S4_, .Lfunc_end153-_Z20warp_exchange_kernelILj1024ELj1ELj64ELN6hipcub21WarpExchangeAlgorithmE1E18BlockedToStripedOpcEvPT4_S4_
                                        ; -- End function
	.section	.AMDGPU.csdata,"",@progbits
; Kernel info:
; codeLenInByte = 68
; NumSgprs: 10
; NumVgprs: 3
; NumAgprs: 0
; TotalNumVgprs: 3
; ScratchSize: 0
; MemoryBound: 0
; FloatMode: 240
; IeeeMode: 1
; LDSByteSize: 0 bytes/workgroup (compile time only)
; SGPRBlocks: 1
; VGPRBlocks: 0
; NumSGPRsForWavesPerEU: 10
; NumVGPRsForWavesPerEU: 3
; AccumOffset: 4
; Occupancy: 8
; WaveLimiterHint : 0
; COMPUTE_PGM_RSRC2:SCRATCH_EN: 0
; COMPUTE_PGM_RSRC2:USER_SGPR: 6
; COMPUTE_PGM_RSRC2:TRAP_HANDLER: 0
; COMPUTE_PGM_RSRC2:TGID_X_EN: 1
; COMPUTE_PGM_RSRC2:TGID_Y_EN: 0
; COMPUTE_PGM_RSRC2:TGID_Z_EN: 0
; COMPUTE_PGM_RSRC2:TIDIG_COMP_CNT: 0
; COMPUTE_PGM_RSRC3_GFX90A:ACCUM_OFFSET: 0
; COMPUTE_PGM_RSRC3_GFX90A:TG_SPLIT: 0
	.section	.text._Z20warp_exchange_kernelILj1024ELj4ELj32ELN6hipcub21WarpExchangeAlgorithmE1E18BlockedToStripedOpcEvPT4_S4_,"axG",@progbits,_Z20warp_exchange_kernelILj1024ELj4ELj32ELN6hipcub21WarpExchangeAlgorithmE1E18BlockedToStripedOpcEvPT4_S4_,comdat
	.protected	_Z20warp_exchange_kernelILj1024ELj4ELj32ELN6hipcub21WarpExchangeAlgorithmE1E18BlockedToStripedOpcEvPT4_S4_ ; -- Begin function _Z20warp_exchange_kernelILj1024ELj4ELj32ELN6hipcub21WarpExchangeAlgorithmE1E18BlockedToStripedOpcEvPT4_S4_
	.globl	_Z20warp_exchange_kernelILj1024ELj4ELj32ELN6hipcub21WarpExchangeAlgorithmE1E18BlockedToStripedOpcEvPT4_S4_
	.p2align	8
	.type	_Z20warp_exchange_kernelILj1024ELj4ELj32ELN6hipcub21WarpExchangeAlgorithmE1E18BlockedToStripedOpcEvPT4_S4_,@function
_Z20warp_exchange_kernelILj1024ELj4ELj32ELN6hipcub21WarpExchangeAlgorithmE1E18BlockedToStripedOpcEvPT4_S4_: ; @_Z20warp_exchange_kernelILj1024ELj4ELj32ELN6hipcub21WarpExchangeAlgorithmE1E18BlockedToStripedOpcEvPT4_S4_
; %bb.0:
	s_load_dwordx4 s[4:7], s[4:5], 0x0
	v_lshlrev_b32_e32 v0, 2, v0
	v_mbcnt_lo_u32_b32 v2, -1, 0
	v_mbcnt_hi_u32_b32 v2, -1, v2
	s_movk_i32 s0, 0x180
	s_waitcnt lgkmcnt(0)
	global_load_dword v1, v0, s[4:5]
	v_and_b32_e32 v3, 3, v2
	v_lshlrev_b32_e32 v4, 2, v2
	v_and_b32_e32 v2, 28, v2
	v_and_or_b32 v2, v4, s0, v2
	s_mov_b32 s2, 0x3020104
	v_cmp_eq_u32_e32 vcc, 1, v3
	v_cmp_eq_u32_e64 s[0:1], 2, v3
	s_mov_b32 s10, 0xffff0000
	v_cmp_eq_u32_e64 s[4:5], 0, v3
	s_movk_i32 s11, 0xff00
	s_mov_b32 s9, 0xffff
	s_movk_i32 s8, 0xff
	s_waitcnt vmcnt(0)
	v_and_b32_e32 v5, 0xff, v1
	v_bfe_u32 v6, v1, 8, 8
	ds_bpermute_b32 v7, v2, v5
	ds_bpermute_b32 v8, v2, v6
	v_lshrrev_b32_e32 v4, 24, v1
	v_bfe_u32 v1, v1, 16, 8
	ds_bpermute_b32 v9, v2, v1
	ds_bpermute_b32 v10, v2, v4
	ds_bpermute_b32 v11, v2, v5 offset:32
	ds_bpermute_b32 v12, v2, v6 offset:32
	;; [unrolled: 1-line block ×12, first 2 shown]
	s_waitcnt lgkmcnt(14)
	v_perm_b32 v4, v8, v7, s2
	v_cndmask_b32_e32 v4, v7, v4, vcc
	s_waitcnt lgkmcnt(13)
	v_perm_b32 v7, v9, v4, s2
	v_cndmask_b32_e64 v4, v4, v7, s[0:1]
	s_waitcnt lgkmcnt(12)
	v_perm_b32 v7, v10, v4, s2
	v_cmp_eq_u32_e64 s[2:3], 3, v3
	s_waitcnt lgkmcnt(11)
	v_lshlrev_b16_e32 v8, 8, v11
	v_cndmask_b32_e64 v4, v4, v7, s[2:3]
	v_or_b32_sdwa v7, v4, v8 dst_sel:DWORD dst_unused:UNUSED_PAD src0_sel:BYTE_0 src1_sel:DWORD
	v_and_b32_e32 v7, 0xffff, v7
	v_and_or_b32 v7, v4, s10, v7
	s_waitcnt lgkmcnt(10)
	v_lshlrev_b16_e32 v11, 8, v12
	v_cndmask_b32_e64 v3, v4, v7, s[4:5]
	v_or_b32_sdwa v4, v3, v11 dst_sel:DWORD dst_unused:UNUSED_PAD src0_sel:BYTE_0 src1_sel:DWORD
	v_and_b32_e32 v4, 0xffff, v4
	v_and_or_b32 v4, v3, s10, v4
	s_waitcnt lgkmcnt(9)
	v_lshlrev_b16_e32 v12, 8, v13
	v_cndmask_b32_e32 v3, v3, v4, vcc
	v_or_b32_sdwa v4, v3, v12 dst_sel:DWORD dst_unused:UNUSED_PAD src0_sel:BYTE_0 src1_sel:DWORD
	v_and_b32_e32 v4, 0xffff, v4
	v_and_or_b32 v4, v3, s10, v4
	s_waitcnt lgkmcnt(8)
	v_lshlrev_b16_e32 v13, 8, v14
	v_cndmask_b32_e64 v3, v3, v4, s[0:1]
	v_or_b32_sdwa v4, v3, v13 dst_sel:DWORD dst_unused:UNUSED_PAD src0_sel:BYTE_0 src1_sel:DWORD
	v_and_b32_e32 v4, 0xffff, v4
	v_and_or_b32 v4, v3, s10, v4
	v_cndmask_b32_e64 v3, v3, v4, s[2:3]
	v_and_b32_sdwa v4, v3, s11 dst_sel:DWORD dst_unused:UNUSED_PAD src0_sel:WORD_1 src1_sel:DWORD
	s_waitcnt lgkmcnt(7)
	v_or_b32_sdwa v4, v15, v4 dst_sel:WORD_1 dst_unused:UNUSED_PAD src0_sel:BYTE_0 src1_sel:DWORD
	v_and_or_b32 v4, v3, s9, v4
	v_cndmask_b32_e64 v3, v3, v4, s[4:5]
	v_and_b32_sdwa v4, v3, s11 dst_sel:DWORD dst_unused:UNUSED_PAD src0_sel:WORD_1 src1_sel:DWORD
	s_waitcnt lgkmcnt(6)
	v_or_b32_sdwa v4, v16, v4 dst_sel:WORD_1 dst_unused:UNUSED_PAD src0_sel:BYTE_0 src1_sel:DWORD
	v_and_or_b32 v4, v3, s9, v4
	v_cndmask_b32_e32 v3, v3, v4, vcc
	v_and_b32_sdwa v4, v3, s11 dst_sel:DWORD dst_unused:UNUSED_PAD src0_sel:WORD_1 src1_sel:DWORD
	s_waitcnt lgkmcnt(5)
	v_or_b32_sdwa v4, v17, v4 dst_sel:WORD_1 dst_unused:UNUSED_PAD src0_sel:BYTE_0 src1_sel:DWORD
	v_and_or_b32 v4, v3, s9, v4
	v_cndmask_b32_e64 v3, v3, v4, s[0:1]
	v_and_b32_sdwa v4, v3, s11 dst_sel:DWORD dst_unused:UNUSED_PAD src0_sel:WORD_1 src1_sel:DWORD
	s_waitcnt lgkmcnt(4)
	v_or_b32_sdwa v4, v18, v4 dst_sel:WORD_1 dst_unused:UNUSED_PAD src0_sel:BYTE_0 src1_sel:DWORD
	v_and_or_b32 v4, v3, s9, v4
	v_cndmask_b32_e64 v3, v3, v4, s[2:3]
	s_waitcnt lgkmcnt(3)
	v_lshlrev_b16_e32 v5, 8, v5
	v_and_b32_sdwa v4, v3, s8 dst_sel:DWORD dst_unused:UNUSED_PAD src0_sel:WORD_1 src1_sel:DWORD
	v_or_b32_sdwa v4, v4, v5 dst_sel:WORD_1 dst_unused:UNUSED_PAD src0_sel:DWORD src1_sel:DWORD
	v_and_or_b32 v4, v3, s9, v4
	v_cndmask_b32_e64 v3, v3, v4, s[4:5]
	s_waitcnt lgkmcnt(2)
	v_lshlrev_b16_e32 v6, 8, v6
	v_and_b32_sdwa v4, v3, s8 dst_sel:DWORD dst_unused:UNUSED_PAD src0_sel:WORD_1 src1_sel:DWORD
	v_or_b32_sdwa v4, v4, v6 dst_sel:WORD_1 dst_unused:UNUSED_PAD src0_sel:DWORD src1_sel:DWORD
	v_and_or_b32 v4, v3, s9, v4
	v_cndmask_b32_e32 v3, v3, v4, vcc
	s_waitcnt lgkmcnt(1)
	v_lshlrev_b16_e32 v1, 8, v1
	v_and_b32_sdwa v4, v3, s8 dst_sel:DWORD dst_unused:UNUSED_PAD src0_sel:WORD_1 src1_sel:DWORD
	v_or_b32_sdwa v1, v4, v1 dst_sel:WORD_1 dst_unused:UNUSED_PAD src0_sel:DWORD src1_sel:DWORD
	v_and_or_b32 v1, v3, s9, v1
	v_cndmask_b32_e64 v1, v3, v1, s[0:1]
	v_and_b32_sdwa v3, v1, s8 dst_sel:DWORD dst_unused:UNUSED_PAD src0_sel:WORD_1 src1_sel:DWORD
	s_waitcnt lgkmcnt(0)
	v_lshlrev_b16_e32 v2, 8, v2
	v_or_b32_sdwa v2, v3, v2 dst_sel:WORD_1 dst_unused:UNUSED_PAD src0_sel:DWORD src1_sel:DWORD
	v_and_or_b32 v2, v1, s9, v2
	v_cndmask_b32_e64 v1, v1, v2, s[2:3]
	global_store_dword v0, v1, s[6:7]
	s_endpgm
	.section	.rodata,"a",@progbits
	.p2align	6, 0x0
	.amdhsa_kernel _Z20warp_exchange_kernelILj1024ELj4ELj32ELN6hipcub21WarpExchangeAlgorithmE1E18BlockedToStripedOpcEvPT4_S4_
		.amdhsa_group_segment_fixed_size 0
		.amdhsa_private_segment_fixed_size 0
		.amdhsa_kernarg_size 16
		.amdhsa_user_sgpr_count 6
		.amdhsa_user_sgpr_private_segment_buffer 1
		.amdhsa_user_sgpr_dispatch_ptr 0
		.amdhsa_user_sgpr_queue_ptr 0
		.amdhsa_user_sgpr_kernarg_segment_ptr 1
		.amdhsa_user_sgpr_dispatch_id 0
		.amdhsa_user_sgpr_flat_scratch_init 0
		.amdhsa_user_sgpr_kernarg_preload_length 0
		.amdhsa_user_sgpr_kernarg_preload_offset 0
		.amdhsa_user_sgpr_private_segment_size 0
		.amdhsa_uses_dynamic_stack 0
		.amdhsa_system_sgpr_private_segment_wavefront_offset 0
		.amdhsa_system_sgpr_workgroup_id_x 1
		.amdhsa_system_sgpr_workgroup_id_y 0
		.amdhsa_system_sgpr_workgroup_id_z 0
		.amdhsa_system_sgpr_workgroup_info 0
		.amdhsa_system_vgpr_workitem_id 0
		.amdhsa_next_free_vgpr 19
		.amdhsa_next_free_sgpr 12
		.amdhsa_accum_offset 20
		.amdhsa_reserve_vcc 1
		.amdhsa_reserve_flat_scratch 0
		.amdhsa_float_round_mode_32 0
		.amdhsa_float_round_mode_16_64 0
		.amdhsa_float_denorm_mode_32 3
		.amdhsa_float_denorm_mode_16_64 3
		.amdhsa_dx10_clamp 1
		.amdhsa_ieee_mode 1
		.amdhsa_fp16_overflow 0
		.amdhsa_tg_split 0
		.amdhsa_exception_fp_ieee_invalid_op 0
		.amdhsa_exception_fp_denorm_src 0
		.amdhsa_exception_fp_ieee_div_zero 0
		.amdhsa_exception_fp_ieee_overflow 0
		.amdhsa_exception_fp_ieee_underflow 0
		.amdhsa_exception_fp_ieee_inexact 0
		.amdhsa_exception_int_div_zero 0
	.end_amdhsa_kernel
	.section	.text._Z20warp_exchange_kernelILj1024ELj4ELj32ELN6hipcub21WarpExchangeAlgorithmE1E18BlockedToStripedOpcEvPT4_S4_,"axG",@progbits,_Z20warp_exchange_kernelILj1024ELj4ELj32ELN6hipcub21WarpExchangeAlgorithmE1E18BlockedToStripedOpcEvPT4_S4_,comdat
.Lfunc_end154:
	.size	_Z20warp_exchange_kernelILj1024ELj4ELj32ELN6hipcub21WarpExchangeAlgorithmE1E18BlockedToStripedOpcEvPT4_S4_, .Lfunc_end154-_Z20warp_exchange_kernelILj1024ELj4ELj32ELN6hipcub21WarpExchangeAlgorithmE1E18BlockedToStripedOpcEvPT4_S4_
                                        ; -- End function
	.section	.AMDGPU.csdata,"",@progbits
; Kernel info:
; codeLenInByte = 804
; NumSgprs: 16
; NumVgprs: 19
; NumAgprs: 0
; TotalNumVgprs: 19
; ScratchSize: 0
; MemoryBound: 0
; FloatMode: 240
; IeeeMode: 1
; LDSByteSize: 0 bytes/workgroup (compile time only)
; SGPRBlocks: 1
; VGPRBlocks: 2
; NumSGPRsForWavesPerEU: 16
; NumVGPRsForWavesPerEU: 19
; AccumOffset: 20
; Occupancy: 8
; WaveLimiterHint : 0
; COMPUTE_PGM_RSRC2:SCRATCH_EN: 0
; COMPUTE_PGM_RSRC2:USER_SGPR: 6
; COMPUTE_PGM_RSRC2:TRAP_HANDLER: 0
; COMPUTE_PGM_RSRC2:TGID_X_EN: 1
; COMPUTE_PGM_RSRC2:TGID_Y_EN: 0
; COMPUTE_PGM_RSRC2:TGID_Z_EN: 0
; COMPUTE_PGM_RSRC2:TIDIG_COMP_CNT: 0
; COMPUTE_PGM_RSRC3_GFX90A:ACCUM_OFFSET: 4
; COMPUTE_PGM_RSRC3_GFX90A:TG_SPLIT: 0
	.section	.text._Z20warp_exchange_kernelILj1024ELj1ELj32ELN6hipcub21WarpExchangeAlgorithmE1E18BlockedToStripedOpcEvPT4_S4_,"axG",@progbits,_Z20warp_exchange_kernelILj1024ELj1ELj32ELN6hipcub21WarpExchangeAlgorithmE1E18BlockedToStripedOpcEvPT4_S4_,comdat
	.protected	_Z20warp_exchange_kernelILj1024ELj1ELj32ELN6hipcub21WarpExchangeAlgorithmE1E18BlockedToStripedOpcEvPT4_S4_ ; -- Begin function _Z20warp_exchange_kernelILj1024ELj1ELj32ELN6hipcub21WarpExchangeAlgorithmE1E18BlockedToStripedOpcEvPT4_S4_
	.globl	_Z20warp_exchange_kernelILj1024ELj1ELj32ELN6hipcub21WarpExchangeAlgorithmE1E18BlockedToStripedOpcEvPT4_S4_
	.p2align	8
	.type	_Z20warp_exchange_kernelILj1024ELj1ELj32ELN6hipcub21WarpExchangeAlgorithmE1E18BlockedToStripedOpcEvPT4_S4_,@function
_Z20warp_exchange_kernelILj1024ELj1ELj32ELN6hipcub21WarpExchangeAlgorithmE1E18BlockedToStripedOpcEvPT4_S4_: ; @_Z20warp_exchange_kernelILj1024ELj1ELj32ELN6hipcub21WarpExchangeAlgorithmE1E18BlockedToStripedOpcEvPT4_S4_
; %bb.0:
	s_load_dwordx4 s[0:3], s[4:5], 0x0
	v_mbcnt_lo_u32_b32 v2, -1, 0
	v_mbcnt_hi_u32_b32 v2, -1, v2
	v_lshlrev_b32_e32 v2, 2, v2
	s_waitcnt lgkmcnt(0)
	global_load_ubyte v1, v0, s[0:1]
	s_waitcnt vmcnt(0)
	ds_bpermute_b32 v1, v2, v1
	s_waitcnt lgkmcnt(0)
	global_store_byte v0, v1, s[2:3]
	s_endpgm
	.section	.rodata,"a",@progbits
	.p2align	6, 0x0
	.amdhsa_kernel _Z20warp_exchange_kernelILj1024ELj1ELj32ELN6hipcub21WarpExchangeAlgorithmE1E18BlockedToStripedOpcEvPT4_S4_
		.amdhsa_group_segment_fixed_size 0
		.amdhsa_private_segment_fixed_size 0
		.amdhsa_kernarg_size 16
		.amdhsa_user_sgpr_count 6
		.amdhsa_user_sgpr_private_segment_buffer 1
		.amdhsa_user_sgpr_dispatch_ptr 0
		.amdhsa_user_sgpr_queue_ptr 0
		.amdhsa_user_sgpr_kernarg_segment_ptr 1
		.amdhsa_user_sgpr_dispatch_id 0
		.amdhsa_user_sgpr_flat_scratch_init 0
		.amdhsa_user_sgpr_kernarg_preload_length 0
		.amdhsa_user_sgpr_kernarg_preload_offset 0
		.amdhsa_user_sgpr_private_segment_size 0
		.amdhsa_uses_dynamic_stack 0
		.amdhsa_system_sgpr_private_segment_wavefront_offset 0
		.amdhsa_system_sgpr_workgroup_id_x 1
		.amdhsa_system_sgpr_workgroup_id_y 0
		.amdhsa_system_sgpr_workgroup_id_z 0
		.amdhsa_system_sgpr_workgroup_info 0
		.amdhsa_system_vgpr_workitem_id 0
		.amdhsa_next_free_vgpr 3
		.amdhsa_next_free_sgpr 6
		.amdhsa_accum_offset 4
		.amdhsa_reserve_vcc 0
		.amdhsa_reserve_flat_scratch 0
		.amdhsa_float_round_mode_32 0
		.amdhsa_float_round_mode_16_64 0
		.amdhsa_float_denorm_mode_32 3
		.amdhsa_float_denorm_mode_16_64 3
		.amdhsa_dx10_clamp 1
		.amdhsa_ieee_mode 1
		.amdhsa_fp16_overflow 0
		.amdhsa_tg_split 0
		.amdhsa_exception_fp_ieee_invalid_op 0
		.amdhsa_exception_fp_denorm_src 0
		.amdhsa_exception_fp_ieee_div_zero 0
		.amdhsa_exception_fp_ieee_overflow 0
		.amdhsa_exception_fp_ieee_underflow 0
		.amdhsa_exception_fp_ieee_inexact 0
		.amdhsa_exception_int_div_zero 0
	.end_amdhsa_kernel
	.section	.text._Z20warp_exchange_kernelILj1024ELj1ELj32ELN6hipcub21WarpExchangeAlgorithmE1E18BlockedToStripedOpcEvPT4_S4_,"axG",@progbits,_Z20warp_exchange_kernelILj1024ELj1ELj32ELN6hipcub21WarpExchangeAlgorithmE1E18BlockedToStripedOpcEvPT4_S4_,comdat
.Lfunc_end155:
	.size	_Z20warp_exchange_kernelILj1024ELj1ELj32ELN6hipcub21WarpExchangeAlgorithmE1E18BlockedToStripedOpcEvPT4_S4_, .Lfunc_end155-_Z20warp_exchange_kernelILj1024ELj1ELj32ELN6hipcub21WarpExchangeAlgorithmE1E18BlockedToStripedOpcEvPT4_S4_
                                        ; -- End function
	.section	.AMDGPU.csdata,"",@progbits
; Kernel info:
; codeLenInByte = 68
; NumSgprs: 10
; NumVgprs: 3
; NumAgprs: 0
; TotalNumVgprs: 3
; ScratchSize: 0
; MemoryBound: 0
; FloatMode: 240
; IeeeMode: 1
; LDSByteSize: 0 bytes/workgroup (compile time only)
; SGPRBlocks: 1
; VGPRBlocks: 0
; NumSGPRsForWavesPerEU: 10
; NumVGPRsForWavesPerEU: 3
; AccumOffset: 4
; Occupancy: 8
; WaveLimiterHint : 0
; COMPUTE_PGM_RSRC2:SCRATCH_EN: 0
; COMPUTE_PGM_RSRC2:USER_SGPR: 6
; COMPUTE_PGM_RSRC2:TRAP_HANDLER: 0
; COMPUTE_PGM_RSRC2:TGID_X_EN: 1
; COMPUTE_PGM_RSRC2:TGID_Y_EN: 0
; COMPUTE_PGM_RSRC2:TGID_Z_EN: 0
; COMPUTE_PGM_RSRC2:TIDIG_COMP_CNT: 0
; COMPUTE_PGM_RSRC3_GFX90A:ACCUM_OFFSET: 0
; COMPUTE_PGM_RSRC3_GFX90A:TG_SPLIT: 0
	.section	.text._Z20warp_exchange_kernelILj1024ELj4ELj16ELN6hipcub21WarpExchangeAlgorithmE1E18BlockedToStripedOpcEvPT4_S4_,"axG",@progbits,_Z20warp_exchange_kernelILj1024ELj4ELj16ELN6hipcub21WarpExchangeAlgorithmE1E18BlockedToStripedOpcEvPT4_S4_,comdat
	.protected	_Z20warp_exchange_kernelILj1024ELj4ELj16ELN6hipcub21WarpExchangeAlgorithmE1E18BlockedToStripedOpcEvPT4_S4_ ; -- Begin function _Z20warp_exchange_kernelILj1024ELj4ELj16ELN6hipcub21WarpExchangeAlgorithmE1E18BlockedToStripedOpcEvPT4_S4_
	.globl	_Z20warp_exchange_kernelILj1024ELj4ELj16ELN6hipcub21WarpExchangeAlgorithmE1E18BlockedToStripedOpcEvPT4_S4_
	.p2align	8
	.type	_Z20warp_exchange_kernelILj1024ELj4ELj16ELN6hipcub21WarpExchangeAlgorithmE1E18BlockedToStripedOpcEvPT4_S4_,@function
_Z20warp_exchange_kernelILj1024ELj4ELj16ELN6hipcub21WarpExchangeAlgorithmE1E18BlockedToStripedOpcEvPT4_S4_: ; @_Z20warp_exchange_kernelILj1024ELj4ELj16ELN6hipcub21WarpExchangeAlgorithmE1E18BlockedToStripedOpcEvPT4_S4_
; %bb.0:
	s_load_dwordx4 s[4:7], s[4:5], 0x0
	v_lshlrev_b32_e32 v0, 2, v0
	v_mbcnt_lo_u32_b32 v2, -1, 0
	v_mbcnt_hi_u32_b32 v2, -1, v2
	s_movk_i32 s0, 0x1c0
	s_waitcnt lgkmcnt(0)
	global_load_dword v1, v0, s[4:5]
	v_and_b32_e32 v3, 3, v2
	v_lshlrev_b32_e32 v4, 2, v2
	v_and_b32_e32 v2, 12, v2
	v_and_or_b32 v2, v4, s0, v2
	s_mov_b32 s2, 0x3020104
	v_cmp_eq_u32_e32 vcc, 1, v3
	v_cmp_eq_u32_e64 s[0:1], 2, v3
	s_mov_b32 s10, 0xffff0000
	v_cmp_eq_u32_e64 s[4:5], 0, v3
	s_movk_i32 s11, 0xff00
	s_mov_b32 s9, 0xffff
	s_movk_i32 s8, 0xff
	s_waitcnt vmcnt(0)
	v_and_b32_e32 v5, 0xff, v1
	v_bfe_u32 v6, v1, 8, 8
	ds_bpermute_b32 v7, v2, v5
	ds_bpermute_b32 v8, v2, v6
	v_lshrrev_b32_e32 v4, 24, v1
	v_bfe_u32 v1, v1, 16, 8
	ds_bpermute_b32 v9, v2, v1
	ds_bpermute_b32 v10, v2, v4
	ds_bpermute_b32 v11, v2, v5 offset:16
	ds_bpermute_b32 v12, v2, v6 offset:16
	;; [unrolled: 1-line block ×12, first 2 shown]
	s_waitcnt lgkmcnt(14)
	v_perm_b32 v4, v8, v7, s2
	v_cndmask_b32_e32 v4, v7, v4, vcc
	s_waitcnt lgkmcnt(13)
	v_perm_b32 v7, v9, v4, s2
	v_cndmask_b32_e64 v4, v4, v7, s[0:1]
	s_waitcnt lgkmcnt(12)
	v_perm_b32 v7, v10, v4, s2
	v_cmp_eq_u32_e64 s[2:3], 3, v3
	s_waitcnt lgkmcnt(11)
	v_lshlrev_b16_e32 v8, 8, v11
	v_cndmask_b32_e64 v4, v4, v7, s[2:3]
	v_or_b32_sdwa v7, v4, v8 dst_sel:DWORD dst_unused:UNUSED_PAD src0_sel:BYTE_0 src1_sel:DWORD
	v_and_b32_e32 v7, 0xffff, v7
	v_and_or_b32 v7, v4, s10, v7
	s_waitcnt lgkmcnt(10)
	v_lshlrev_b16_e32 v11, 8, v12
	v_cndmask_b32_e64 v3, v4, v7, s[4:5]
	v_or_b32_sdwa v4, v3, v11 dst_sel:DWORD dst_unused:UNUSED_PAD src0_sel:BYTE_0 src1_sel:DWORD
	v_and_b32_e32 v4, 0xffff, v4
	v_and_or_b32 v4, v3, s10, v4
	s_waitcnt lgkmcnt(9)
	v_lshlrev_b16_e32 v12, 8, v13
	v_cndmask_b32_e32 v3, v3, v4, vcc
	v_or_b32_sdwa v4, v3, v12 dst_sel:DWORD dst_unused:UNUSED_PAD src0_sel:BYTE_0 src1_sel:DWORD
	v_and_b32_e32 v4, 0xffff, v4
	v_and_or_b32 v4, v3, s10, v4
	s_waitcnt lgkmcnt(8)
	v_lshlrev_b16_e32 v13, 8, v14
	v_cndmask_b32_e64 v3, v3, v4, s[0:1]
	v_or_b32_sdwa v4, v3, v13 dst_sel:DWORD dst_unused:UNUSED_PAD src0_sel:BYTE_0 src1_sel:DWORD
	v_and_b32_e32 v4, 0xffff, v4
	v_and_or_b32 v4, v3, s10, v4
	v_cndmask_b32_e64 v3, v3, v4, s[2:3]
	v_and_b32_sdwa v4, v3, s11 dst_sel:DWORD dst_unused:UNUSED_PAD src0_sel:WORD_1 src1_sel:DWORD
	s_waitcnt lgkmcnt(7)
	v_or_b32_sdwa v4, v15, v4 dst_sel:WORD_1 dst_unused:UNUSED_PAD src0_sel:BYTE_0 src1_sel:DWORD
	v_and_or_b32 v4, v3, s9, v4
	v_cndmask_b32_e64 v3, v3, v4, s[4:5]
	v_and_b32_sdwa v4, v3, s11 dst_sel:DWORD dst_unused:UNUSED_PAD src0_sel:WORD_1 src1_sel:DWORD
	s_waitcnt lgkmcnt(6)
	v_or_b32_sdwa v4, v16, v4 dst_sel:WORD_1 dst_unused:UNUSED_PAD src0_sel:BYTE_0 src1_sel:DWORD
	v_and_or_b32 v4, v3, s9, v4
	v_cndmask_b32_e32 v3, v3, v4, vcc
	v_and_b32_sdwa v4, v3, s11 dst_sel:DWORD dst_unused:UNUSED_PAD src0_sel:WORD_1 src1_sel:DWORD
	s_waitcnt lgkmcnt(5)
	v_or_b32_sdwa v4, v17, v4 dst_sel:WORD_1 dst_unused:UNUSED_PAD src0_sel:BYTE_0 src1_sel:DWORD
	v_and_or_b32 v4, v3, s9, v4
	v_cndmask_b32_e64 v3, v3, v4, s[0:1]
	v_and_b32_sdwa v4, v3, s11 dst_sel:DWORD dst_unused:UNUSED_PAD src0_sel:WORD_1 src1_sel:DWORD
	s_waitcnt lgkmcnt(4)
	v_or_b32_sdwa v4, v18, v4 dst_sel:WORD_1 dst_unused:UNUSED_PAD src0_sel:BYTE_0 src1_sel:DWORD
	v_and_or_b32 v4, v3, s9, v4
	v_cndmask_b32_e64 v3, v3, v4, s[2:3]
	s_waitcnt lgkmcnt(3)
	v_lshlrev_b16_e32 v5, 8, v5
	v_and_b32_sdwa v4, v3, s8 dst_sel:DWORD dst_unused:UNUSED_PAD src0_sel:WORD_1 src1_sel:DWORD
	v_or_b32_sdwa v4, v4, v5 dst_sel:WORD_1 dst_unused:UNUSED_PAD src0_sel:DWORD src1_sel:DWORD
	v_and_or_b32 v4, v3, s9, v4
	v_cndmask_b32_e64 v3, v3, v4, s[4:5]
	s_waitcnt lgkmcnt(2)
	v_lshlrev_b16_e32 v6, 8, v6
	v_and_b32_sdwa v4, v3, s8 dst_sel:DWORD dst_unused:UNUSED_PAD src0_sel:WORD_1 src1_sel:DWORD
	v_or_b32_sdwa v4, v4, v6 dst_sel:WORD_1 dst_unused:UNUSED_PAD src0_sel:DWORD src1_sel:DWORD
	v_and_or_b32 v4, v3, s9, v4
	v_cndmask_b32_e32 v3, v3, v4, vcc
	s_waitcnt lgkmcnt(1)
	v_lshlrev_b16_e32 v1, 8, v1
	v_and_b32_sdwa v4, v3, s8 dst_sel:DWORD dst_unused:UNUSED_PAD src0_sel:WORD_1 src1_sel:DWORD
	v_or_b32_sdwa v1, v4, v1 dst_sel:WORD_1 dst_unused:UNUSED_PAD src0_sel:DWORD src1_sel:DWORD
	v_and_or_b32 v1, v3, s9, v1
	v_cndmask_b32_e64 v1, v3, v1, s[0:1]
	v_and_b32_sdwa v3, v1, s8 dst_sel:DWORD dst_unused:UNUSED_PAD src0_sel:WORD_1 src1_sel:DWORD
	s_waitcnt lgkmcnt(0)
	v_lshlrev_b16_e32 v2, 8, v2
	v_or_b32_sdwa v2, v3, v2 dst_sel:WORD_1 dst_unused:UNUSED_PAD src0_sel:DWORD src1_sel:DWORD
	v_and_or_b32 v2, v1, s9, v2
	v_cndmask_b32_e64 v1, v1, v2, s[2:3]
	global_store_dword v0, v1, s[6:7]
	s_endpgm
	.section	.rodata,"a",@progbits
	.p2align	6, 0x0
	.amdhsa_kernel _Z20warp_exchange_kernelILj1024ELj4ELj16ELN6hipcub21WarpExchangeAlgorithmE1E18BlockedToStripedOpcEvPT4_S4_
		.amdhsa_group_segment_fixed_size 0
		.amdhsa_private_segment_fixed_size 0
		.amdhsa_kernarg_size 16
		.amdhsa_user_sgpr_count 6
		.amdhsa_user_sgpr_private_segment_buffer 1
		.amdhsa_user_sgpr_dispatch_ptr 0
		.amdhsa_user_sgpr_queue_ptr 0
		.amdhsa_user_sgpr_kernarg_segment_ptr 1
		.amdhsa_user_sgpr_dispatch_id 0
		.amdhsa_user_sgpr_flat_scratch_init 0
		.amdhsa_user_sgpr_kernarg_preload_length 0
		.amdhsa_user_sgpr_kernarg_preload_offset 0
		.amdhsa_user_sgpr_private_segment_size 0
		.amdhsa_uses_dynamic_stack 0
		.amdhsa_system_sgpr_private_segment_wavefront_offset 0
		.amdhsa_system_sgpr_workgroup_id_x 1
		.amdhsa_system_sgpr_workgroup_id_y 0
		.amdhsa_system_sgpr_workgroup_id_z 0
		.amdhsa_system_sgpr_workgroup_info 0
		.amdhsa_system_vgpr_workitem_id 0
		.amdhsa_next_free_vgpr 19
		.amdhsa_next_free_sgpr 12
		.amdhsa_accum_offset 20
		.amdhsa_reserve_vcc 1
		.amdhsa_reserve_flat_scratch 0
		.amdhsa_float_round_mode_32 0
		.amdhsa_float_round_mode_16_64 0
		.amdhsa_float_denorm_mode_32 3
		.amdhsa_float_denorm_mode_16_64 3
		.amdhsa_dx10_clamp 1
		.amdhsa_ieee_mode 1
		.amdhsa_fp16_overflow 0
		.amdhsa_tg_split 0
		.amdhsa_exception_fp_ieee_invalid_op 0
		.amdhsa_exception_fp_denorm_src 0
		.amdhsa_exception_fp_ieee_div_zero 0
		.amdhsa_exception_fp_ieee_overflow 0
		.amdhsa_exception_fp_ieee_underflow 0
		.amdhsa_exception_fp_ieee_inexact 0
		.amdhsa_exception_int_div_zero 0
	.end_amdhsa_kernel
	.section	.text._Z20warp_exchange_kernelILj1024ELj4ELj16ELN6hipcub21WarpExchangeAlgorithmE1E18BlockedToStripedOpcEvPT4_S4_,"axG",@progbits,_Z20warp_exchange_kernelILj1024ELj4ELj16ELN6hipcub21WarpExchangeAlgorithmE1E18BlockedToStripedOpcEvPT4_S4_,comdat
.Lfunc_end156:
	.size	_Z20warp_exchange_kernelILj1024ELj4ELj16ELN6hipcub21WarpExchangeAlgorithmE1E18BlockedToStripedOpcEvPT4_S4_, .Lfunc_end156-_Z20warp_exchange_kernelILj1024ELj4ELj16ELN6hipcub21WarpExchangeAlgorithmE1E18BlockedToStripedOpcEvPT4_S4_
                                        ; -- End function
	.section	.AMDGPU.csdata,"",@progbits
; Kernel info:
; codeLenInByte = 804
; NumSgprs: 16
; NumVgprs: 19
; NumAgprs: 0
; TotalNumVgprs: 19
; ScratchSize: 0
; MemoryBound: 0
; FloatMode: 240
; IeeeMode: 1
; LDSByteSize: 0 bytes/workgroup (compile time only)
; SGPRBlocks: 1
; VGPRBlocks: 2
; NumSGPRsForWavesPerEU: 16
; NumVGPRsForWavesPerEU: 19
; AccumOffset: 20
; Occupancy: 8
; WaveLimiterHint : 0
; COMPUTE_PGM_RSRC2:SCRATCH_EN: 0
; COMPUTE_PGM_RSRC2:USER_SGPR: 6
; COMPUTE_PGM_RSRC2:TRAP_HANDLER: 0
; COMPUTE_PGM_RSRC2:TGID_X_EN: 1
; COMPUTE_PGM_RSRC2:TGID_Y_EN: 0
; COMPUTE_PGM_RSRC2:TGID_Z_EN: 0
; COMPUTE_PGM_RSRC2:TIDIG_COMP_CNT: 0
; COMPUTE_PGM_RSRC3_GFX90A:ACCUM_OFFSET: 4
; COMPUTE_PGM_RSRC3_GFX90A:TG_SPLIT: 0
	.section	.text._Z20warp_exchange_kernelILj1024ELj1ELj16ELN6hipcub21WarpExchangeAlgorithmE1E18BlockedToStripedOpcEvPT4_S4_,"axG",@progbits,_Z20warp_exchange_kernelILj1024ELj1ELj16ELN6hipcub21WarpExchangeAlgorithmE1E18BlockedToStripedOpcEvPT4_S4_,comdat
	.protected	_Z20warp_exchange_kernelILj1024ELj1ELj16ELN6hipcub21WarpExchangeAlgorithmE1E18BlockedToStripedOpcEvPT4_S4_ ; -- Begin function _Z20warp_exchange_kernelILj1024ELj1ELj16ELN6hipcub21WarpExchangeAlgorithmE1E18BlockedToStripedOpcEvPT4_S4_
	.globl	_Z20warp_exchange_kernelILj1024ELj1ELj16ELN6hipcub21WarpExchangeAlgorithmE1E18BlockedToStripedOpcEvPT4_S4_
	.p2align	8
	.type	_Z20warp_exchange_kernelILj1024ELj1ELj16ELN6hipcub21WarpExchangeAlgorithmE1E18BlockedToStripedOpcEvPT4_S4_,@function
_Z20warp_exchange_kernelILj1024ELj1ELj16ELN6hipcub21WarpExchangeAlgorithmE1E18BlockedToStripedOpcEvPT4_S4_: ; @_Z20warp_exchange_kernelILj1024ELj1ELj16ELN6hipcub21WarpExchangeAlgorithmE1E18BlockedToStripedOpcEvPT4_S4_
; %bb.0:
	s_load_dwordx4 s[0:3], s[4:5], 0x0
	v_mbcnt_lo_u32_b32 v2, -1, 0
	v_mbcnt_hi_u32_b32 v2, -1, v2
	v_lshlrev_b32_e32 v2, 2, v2
	s_waitcnt lgkmcnt(0)
	global_load_ubyte v1, v0, s[0:1]
	s_waitcnt vmcnt(0)
	ds_bpermute_b32 v1, v2, v1
	s_waitcnt lgkmcnt(0)
	global_store_byte v0, v1, s[2:3]
	s_endpgm
	.section	.rodata,"a",@progbits
	.p2align	6, 0x0
	.amdhsa_kernel _Z20warp_exchange_kernelILj1024ELj1ELj16ELN6hipcub21WarpExchangeAlgorithmE1E18BlockedToStripedOpcEvPT4_S4_
		.amdhsa_group_segment_fixed_size 0
		.amdhsa_private_segment_fixed_size 0
		.amdhsa_kernarg_size 16
		.amdhsa_user_sgpr_count 6
		.amdhsa_user_sgpr_private_segment_buffer 1
		.amdhsa_user_sgpr_dispatch_ptr 0
		.amdhsa_user_sgpr_queue_ptr 0
		.amdhsa_user_sgpr_kernarg_segment_ptr 1
		.amdhsa_user_sgpr_dispatch_id 0
		.amdhsa_user_sgpr_flat_scratch_init 0
		.amdhsa_user_sgpr_kernarg_preload_length 0
		.amdhsa_user_sgpr_kernarg_preload_offset 0
		.amdhsa_user_sgpr_private_segment_size 0
		.amdhsa_uses_dynamic_stack 0
		.amdhsa_system_sgpr_private_segment_wavefront_offset 0
		.amdhsa_system_sgpr_workgroup_id_x 1
		.amdhsa_system_sgpr_workgroup_id_y 0
		.amdhsa_system_sgpr_workgroup_id_z 0
		.amdhsa_system_sgpr_workgroup_info 0
		.amdhsa_system_vgpr_workitem_id 0
		.amdhsa_next_free_vgpr 3
		.amdhsa_next_free_sgpr 6
		.amdhsa_accum_offset 4
		.amdhsa_reserve_vcc 0
		.amdhsa_reserve_flat_scratch 0
		.amdhsa_float_round_mode_32 0
		.amdhsa_float_round_mode_16_64 0
		.amdhsa_float_denorm_mode_32 3
		.amdhsa_float_denorm_mode_16_64 3
		.amdhsa_dx10_clamp 1
		.amdhsa_ieee_mode 1
		.amdhsa_fp16_overflow 0
		.amdhsa_tg_split 0
		.amdhsa_exception_fp_ieee_invalid_op 0
		.amdhsa_exception_fp_denorm_src 0
		.amdhsa_exception_fp_ieee_div_zero 0
		.amdhsa_exception_fp_ieee_overflow 0
		.amdhsa_exception_fp_ieee_underflow 0
		.amdhsa_exception_fp_ieee_inexact 0
		.amdhsa_exception_int_div_zero 0
	.end_amdhsa_kernel
	.section	.text._Z20warp_exchange_kernelILj1024ELj1ELj16ELN6hipcub21WarpExchangeAlgorithmE1E18BlockedToStripedOpcEvPT4_S4_,"axG",@progbits,_Z20warp_exchange_kernelILj1024ELj1ELj16ELN6hipcub21WarpExchangeAlgorithmE1E18BlockedToStripedOpcEvPT4_S4_,comdat
.Lfunc_end157:
	.size	_Z20warp_exchange_kernelILj1024ELj1ELj16ELN6hipcub21WarpExchangeAlgorithmE1E18BlockedToStripedOpcEvPT4_S4_, .Lfunc_end157-_Z20warp_exchange_kernelILj1024ELj1ELj16ELN6hipcub21WarpExchangeAlgorithmE1E18BlockedToStripedOpcEvPT4_S4_
                                        ; -- End function
	.section	.AMDGPU.csdata,"",@progbits
; Kernel info:
; codeLenInByte = 68
; NumSgprs: 10
; NumVgprs: 3
; NumAgprs: 0
; TotalNumVgprs: 3
; ScratchSize: 0
; MemoryBound: 0
; FloatMode: 240
; IeeeMode: 1
; LDSByteSize: 0 bytes/workgroup (compile time only)
; SGPRBlocks: 1
; VGPRBlocks: 0
; NumSGPRsForWavesPerEU: 10
; NumVGPRsForWavesPerEU: 3
; AccumOffset: 4
; Occupancy: 8
; WaveLimiterHint : 0
; COMPUTE_PGM_RSRC2:SCRATCH_EN: 0
; COMPUTE_PGM_RSRC2:USER_SGPR: 6
; COMPUTE_PGM_RSRC2:TRAP_HANDLER: 0
; COMPUTE_PGM_RSRC2:TGID_X_EN: 1
; COMPUTE_PGM_RSRC2:TGID_Y_EN: 0
; COMPUTE_PGM_RSRC2:TGID_Z_EN: 0
; COMPUTE_PGM_RSRC2:TIDIG_COMP_CNT: 0
; COMPUTE_PGM_RSRC3_GFX90A:ACCUM_OFFSET: 0
; COMPUTE_PGM_RSRC3_GFX90A:TG_SPLIT: 0
	.section	.text._Z20warp_exchange_kernelILj1024ELj4ELj8ELN6hipcub21WarpExchangeAlgorithmE1E18BlockedToStripedOpcEvPT4_S4_,"axG",@progbits,_Z20warp_exchange_kernelILj1024ELj4ELj8ELN6hipcub21WarpExchangeAlgorithmE1E18BlockedToStripedOpcEvPT4_S4_,comdat
	.protected	_Z20warp_exchange_kernelILj1024ELj4ELj8ELN6hipcub21WarpExchangeAlgorithmE1E18BlockedToStripedOpcEvPT4_S4_ ; -- Begin function _Z20warp_exchange_kernelILj1024ELj4ELj8ELN6hipcub21WarpExchangeAlgorithmE1E18BlockedToStripedOpcEvPT4_S4_
	.globl	_Z20warp_exchange_kernelILj1024ELj4ELj8ELN6hipcub21WarpExchangeAlgorithmE1E18BlockedToStripedOpcEvPT4_S4_
	.p2align	8
	.type	_Z20warp_exchange_kernelILj1024ELj4ELj8ELN6hipcub21WarpExchangeAlgorithmE1E18BlockedToStripedOpcEvPT4_S4_,@function
_Z20warp_exchange_kernelILj1024ELj4ELj8ELN6hipcub21WarpExchangeAlgorithmE1E18BlockedToStripedOpcEvPT4_S4_: ; @_Z20warp_exchange_kernelILj1024ELj4ELj8ELN6hipcub21WarpExchangeAlgorithmE1E18BlockedToStripedOpcEvPT4_S4_
; %bb.0:
	s_load_dwordx4 s[4:7], s[4:5], 0x0
	v_lshlrev_b32_e32 v0, 2, v0
	v_mbcnt_lo_u32_b32 v2, -1, 0
	v_mbcnt_hi_u32_b32 v2, -1, v2
	s_movk_i32 s0, 0x1e0
	s_waitcnt lgkmcnt(0)
	global_load_dword v1, v0, s[4:5]
	v_and_b32_e32 v3, 3, v2
	v_lshlrev_b32_e32 v4, 2, v2
	v_and_b32_e32 v2, 4, v2
	v_and_or_b32 v2, v4, s0, v2
	s_mov_b32 s2, 0x3020104
	v_cmp_eq_u32_e32 vcc, 1, v3
	v_cmp_eq_u32_e64 s[0:1], 2, v3
	s_mov_b32 s10, 0xffff0000
	v_cmp_eq_u32_e64 s[4:5], 0, v3
	s_movk_i32 s11, 0xff00
	s_mov_b32 s9, 0xffff
	s_movk_i32 s8, 0xff
	s_waitcnt vmcnt(0)
	v_and_b32_e32 v5, 0xff, v1
	v_bfe_u32 v6, v1, 8, 8
	ds_bpermute_b32 v7, v2, v5
	ds_bpermute_b32 v8, v2, v6
	v_lshrrev_b32_e32 v4, 24, v1
	v_bfe_u32 v1, v1, 16, 8
	ds_bpermute_b32 v9, v2, v1
	ds_bpermute_b32 v10, v2, v4
	ds_bpermute_b32 v11, v2, v5 offset:8
	ds_bpermute_b32 v12, v2, v6 offset:8
	;; [unrolled: 1-line block ×12, first 2 shown]
	s_waitcnt lgkmcnt(14)
	v_perm_b32 v4, v8, v7, s2
	v_cndmask_b32_e32 v4, v7, v4, vcc
	s_waitcnt lgkmcnt(13)
	v_perm_b32 v7, v9, v4, s2
	v_cndmask_b32_e64 v4, v4, v7, s[0:1]
	s_waitcnt lgkmcnt(12)
	v_perm_b32 v7, v10, v4, s2
	v_cmp_eq_u32_e64 s[2:3], 3, v3
	s_waitcnt lgkmcnt(11)
	v_lshlrev_b16_e32 v8, 8, v11
	v_cndmask_b32_e64 v4, v4, v7, s[2:3]
	v_or_b32_sdwa v7, v4, v8 dst_sel:DWORD dst_unused:UNUSED_PAD src0_sel:BYTE_0 src1_sel:DWORD
	v_and_b32_e32 v7, 0xffff, v7
	v_and_or_b32 v7, v4, s10, v7
	s_waitcnt lgkmcnt(10)
	v_lshlrev_b16_e32 v11, 8, v12
	v_cndmask_b32_e64 v3, v4, v7, s[4:5]
	v_or_b32_sdwa v4, v3, v11 dst_sel:DWORD dst_unused:UNUSED_PAD src0_sel:BYTE_0 src1_sel:DWORD
	v_and_b32_e32 v4, 0xffff, v4
	v_and_or_b32 v4, v3, s10, v4
	s_waitcnt lgkmcnt(9)
	v_lshlrev_b16_e32 v12, 8, v13
	v_cndmask_b32_e32 v3, v3, v4, vcc
	v_or_b32_sdwa v4, v3, v12 dst_sel:DWORD dst_unused:UNUSED_PAD src0_sel:BYTE_0 src1_sel:DWORD
	v_and_b32_e32 v4, 0xffff, v4
	v_and_or_b32 v4, v3, s10, v4
	s_waitcnt lgkmcnt(8)
	v_lshlrev_b16_e32 v13, 8, v14
	v_cndmask_b32_e64 v3, v3, v4, s[0:1]
	v_or_b32_sdwa v4, v3, v13 dst_sel:DWORD dst_unused:UNUSED_PAD src0_sel:BYTE_0 src1_sel:DWORD
	v_and_b32_e32 v4, 0xffff, v4
	v_and_or_b32 v4, v3, s10, v4
	v_cndmask_b32_e64 v3, v3, v4, s[2:3]
	v_and_b32_sdwa v4, v3, s11 dst_sel:DWORD dst_unused:UNUSED_PAD src0_sel:WORD_1 src1_sel:DWORD
	s_waitcnt lgkmcnt(7)
	v_or_b32_sdwa v4, v15, v4 dst_sel:WORD_1 dst_unused:UNUSED_PAD src0_sel:BYTE_0 src1_sel:DWORD
	v_and_or_b32 v4, v3, s9, v4
	v_cndmask_b32_e64 v3, v3, v4, s[4:5]
	v_and_b32_sdwa v4, v3, s11 dst_sel:DWORD dst_unused:UNUSED_PAD src0_sel:WORD_1 src1_sel:DWORD
	s_waitcnt lgkmcnt(6)
	v_or_b32_sdwa v4, v16, v4 dst_sel:WORD_1 dst_unused:UNUSED_PAD src0_sel:BYTE_0 src1_sel:DWORD
	v_and_or_b32 v4, v3, s9, v4
	v_cndmask_b32_e32 v3, v3, v4, vcc
	v_and_b32_sdwa v4, v3, s11 dst_sel:DWORD dst_unused:UNUSED_PAD src0_sel:WORD_1 src1_sel:DWORD
	s_waitcnt lgkmcnt(5)
	v_or_b32_sdwa v4, v17, v4 dst_sel:WORD_1 dst_unused:UNUSED_PAD src0_sel:BYTE_0 src1_sel:DWORD
	v_and_or_b32 v4, v3, s9, v4
	v_cndmask_b32_e64 v3, v3, v4, s[0:1]
	v_and_b32_sdwa v4, v3, s11 dst_sel:DWORD dst_unused:UNUSED_PAD src0_sel:WORD_1 src1_sel:DWORD
	s_waitcnt lgkmcnt(4)
	v_or_b32_sdwa v4, v18, v4 dst_sel:WORD_1 dst_unused:UNUSED_PAD src0_sel:BYTE_0 src1_sel:DWORD
	v_and_or_b32 v4, v3, s9, v4
	v_cndmask_b32_e64 v3, v3, v4, s[2:3]
	s_waitcnt lgkmcnt(3)
	v_lshlrev_b16_e32 v5, 8, v5
	v_and_b32_sdwa v4, v3, s8 dst_sel:DWORD dst_unused:UNUSED_PAD src0_sel:WORD_1 src1_sel:DWORD
	v_or_b32_sdwa v4, v4, v5 dst_sel:WORD_1 dst_unused:UNUSED_PAD src0_sel:DWORD src1_sel:DWORD
	v_and_or_b32 v4, v3, s9, v4
	v_cndmask_b32_e64 v3, v3, v4, s[4:5]
	s_waitcnt lgkmcnt(2)
	v_lshlrev_b16_e32 v6, 8, v6
	v_and_b32_sdwa v4, v3, s8 dst_sel:DWORD dst_unused:UNUSED_PAD src0_sel:WORD_1 src1_sel:DWORD
	v_or_b32_sdwa v4, v4, v6 dst_sel:WORD_1 dst_unused:UNUSED_PAD src0_sel:DWORD src1_sel:DWORD
	v_and_or_b32 v4, v3, s9, v4
	v_cndmask_b32_e32 v3, v3, v4, vcc
	s_waitcnt lgkmcnt(1)
	v_lshlrev_b16_e32 v1, 8, v1
	v_and_b32_sdwa v4, v3, s8 dst_sel:DWORD dst_unused:UNUSED_PAD src0_sel:WORD_1 src1_sel:DWORD
	v_or_b32_sdwa v1, v4, v1 dst_sel:WORD_1 dst_unused:UNUSED_PAD src0_sel:DWORD src1_sel:DWORD
	v_and_or_b32 v1, v3, s9, v1
	v_cndmask_b32_e64 v1, v3, v1, s[0:1]
	v_and_b32_sdwa v3, v1, s8 dst_sel:DWORD dst_unused:UNUSED_PAD src0_sel:WORD_1 src1_sel:DWORD
	s_waitcnt lgkmcnt(0)
	v_lshlrev_b16_e32 v2, 8, v2
	v_or_b32_sdwa v2, v3, v2 dst_sel:WORD_1 dst_unused:UNUSED_PAD src0_sel:DWORD src1_sel:DWORD
	v_and_or_b32 v2, v1, s9, v2
	v_cndmask_b32_e64 v1, v1, v2, s[2:3]
	global_store_dword v0, v1, s[6:7]
	s_endpgm
	.section	.rodata,"a",@progbits
	.p2align	6, 0x0
	.amdhsa_kernel _Z20warp_exchange_kernelILj1024ELj4ELj8ELN6hipcub21WarpExchangeAlgorithmE1E18BlockedToStripedOpcEvPT4_S4_
		.amdhsa_group_segment_fixed_size 0
		.amdhsa_private_segment_fixed_size 0
		.amdhsa_kernarg_size 16
		.amdhsa_user_sgpr_count 6
		.amdhsa_user_sgpr_private_segment_buffer 1
		.amdhsa_user_sgpr_dispatch_ptr 0
		.amdhsa_user_sgpr_queue_ptr 0
		.amdhsa_user_sgpr_kernarg_segment_ptr 1
		.amdhsa_user_sgpr_dispatch_id 0
		.amdhsa_user_sgpr_flat_scratch_init 0
		.amdhsa_user_sgpr_kernarg_preload_length 0
		.amdhsa_user_sgpr_kernarg_preload_offset 0
		.amdhsa_user_sgpr_private_segment_size 0
		.amdhsa_uses_dynamic_stack 0
		.amdhsa_system_sgpr_private_segment_wavefront_offset 0
		.amdhsa_system_sgpr_workgroup_id_x 1
		.amdhsa_system_sgpr_workgroup_id_y 0
		.amdhsa_system_sgpr_workgroup_id_z 0
		.amdhsa_system_sgpr_workgroup_info 0
		.amdhsa_system_vgpr_workitem_id 0
		.amdhsa_next_free_vgpr 19
		.amdhsa_next_free_sgpr 12
		.amdhsa_accum_offset 20
		.amdhsa_reserve_vcc 1
		.amdhsa_reserve_flat_scratch 0
		.amdhsa_float_round_mode_32 0
		.amdhsa_float_round_mode_16_64 0
		.amdhsa_float_denorm_mode_32 3
		.amdhsa_float_denorm_mode_16_64 3
		.amdhsa_dx10_clamp 1
		.amdhsa_ieee_mode 1
		.amdhsa_fp16_overflow 0
		.amdhsa_tg_split 0
		.amdhsa_exception_fp_ieee_invalid_op 0
		.amdhsa_exception_fp_denorm_src 0
		.amdhsa_exception_fp_ieee_div_zero 0
		.amdhsa_exception_fp_ieee_overflow 0
		.amdhsa_exception_fp_ieee_underflow 0
		.amdhsa_exception_fp_ieee_inexact 0
		.amdhsa_exception_int_div_zero 0
	.end_amdhsa_kernel
	.section	.text._Z20warp_exchange_kernelILj1024ELj4ELj8ELN6hipcub21WarpExchangeAlgorithmE1E18BlockedToStripedOpcEvPT4_S4_,"axG",@progbits,_Z20warp_exchange_kernelILj1024ELj4ELj8ELN6hipcub21WarpExchangeAlgorithmE1E18BlockedToStripedOpcEvPT4_S4_,comdat
.Lfunc_end158:
	.size	_Z20warp_exchange_kernelILj1024ELj4ELj8ELN6hipcub21WarpExchangeAlgorithmE1E18BlockedToStripedOpcEvPT4_S4_, .Lfunc_end158-_Z20warp_exchange_kernelILj1024ELj4ELj8ELN6hipcub21WarpExchangeAlgorithmE1E18BlockedToStripedOpcEvPT4_S4_
                                        ; -- End function
	.section	.AMDGPU.csdata,"",@progbits
; Kernel info:
; codeLenInByte = 804
; NumSgprs: 16
; NumVgprs: 19
; NumAgprs: 0
; TotalNumVgprs: 19
; ScratchSize: 0
; MemoryBound: 0
; FloatMode: 240
; IeeeMode: 1
; LDSByteSize: 0 bytes/workgroup (compile time only)
; SGPRBlocks: 1
; VGPRBlocks: 2
; NumSGPRsForWavesPerEU: 16
; NumVGPRsForWavesPerEU: 19
; AccumOffset: 20
; Occupancy: 8
; WaveLimiterHint : 0
; COMPUTE_PGM_RSRC2:SCRATCH_EN: 0
; COMPUTE_PGM_RSRC2:USER_SGPR: 6
; COMPUTE_PGM_RSRC2:TRAP_HANDLER: 0
; COMPUTE_PGM_RSRC2:TGID_X_EN: 1
; COMPUTE_PGM_RSRC2:TGID_Y_EN: 0
; COMPUTE_PGM_RSRC2:TGID_Z_EN: 0
; COMPUTE_PGM_RSRC2:TIDIG_COMP_CNT: 0
; COMPUTE_PGM_RSRC3_GFX90A:ACCUM_OFFSET: 4
; COMPUTE_PGM_RSRC3_GFX90A:TG_SPLIT: 0
	.section	.text._Z20warp_exchange_kernelILj1024ELj1ELj8ELN6hipcub21WarpExchangeAlgorithmE1E18BlockedToStripedOpcEvPT4_S4_,"axG",@progbits,_Z20warp_exchange_kernelILj1024ELj1ELj8ELN6hipcub21WarpExchangeAlgorithmE1E18BlockedToStripedOpcEvPT4_S4_,comdat
	.protected	_Z20warp_exchange_kernelILj1024ELj1ELj8ELN6hipcub21WarpExchangeAlgorithmE1E18BlockedToStripedOpcEvPT4_S4_ ; -- Begin function _Z20warp_exchange_kernelILj1024ELj1ELj8ELN6hipcub21WarpExchangeAlgorithmE1E18BlockedToStripedOpcEvPT4_S4_
	.globl	_Z20warp_exchange_kernelILj1024ELj1ELj8ELN6hipcub21WarpExchangeAlgorithmE1E18BlockedToStripedOpcEvPT4_S4_
	.p2align	8
	.type	_Z20warp_exchange_kernelILj1024ELj1ELj8ELN6hipcub21WarpExchangeAlgorithmE1E18BlockedToStripedOpcEvPT4_S4_,@function
_Z20warp_exchange_kernelILj1024ELj1ELj8ELN6hipcub21WarpExchangeAlgorithmE1E18BlockedToStripedOpcEvPT4_S4_: ; @_Z20warp_exchange_kernelILj1024ELj1ELj8ELN6hipcub21WarpExchangeAlgorithmE1E18BlockedToStripedOpcEvPT4_S4_
; %bb.0:
	s_load_dwordx4 s[0:3], s[4:5], 0x0
	v_mbcnt_lo_u32_b32 v2, -1, 0
	v_mbcnt_hi_u32_b32 v2, -1, v2
	v_lshlrev_b32_e32 v2, 2, v2
	s_waitcnt lgkmcnt(0)
	global_load_ubyte v1, v0, s[0:1]
	s_waitcnt vmcnt(0)
	ds_bpermute_b32 v1, v2, v1
	s_waitcnt lgkmcnt(0)
	global_store_byte v0, v1, s[2:3]
	s_endpgm
	.section	.rodata,"a",@progbits
	.p2align	6, 0x0
	.amdhsa_kernel _Z20warp_exchange_kernelILj1024ELj1ELj8ELN6hipcub21WarpExchangeAlgorithmE1E18BlockedToStripedOpcEvPT4_S4_
		.amdhsa_group_segment_fixed_size 0
		.amdhsa_private_segment_fixed_size 0
		.amdhsa_kernarg_size 16
		.amdhsa_user_sgpr_count 6
		.amdhsa_user_sgpr_private_segment_buffer 1
		.amdhsa_user_sgpr_dispatch_ptr 0
		.amdhsa_user_sgpr_queue_ptr 0
		.amdhsa_user_sgpr_kernarg_segment_ptr 1
		.amdhsa_user_sgpr_dispatch_id 0
		.amdhsa_user_sgpr_flat_scratch_init 0
		.amdhsa_user_sgpr_kernarg_preload_length 0
		.amdhsa_user_sgpr_kernarg_preload_offset 0
		.amdhsa_user_sgpr_private_segment_size 0
		.amdhsa_uses_dynamic_stack 0
		.amdhsa_system_sgpr_private_segment_wavefront_offset 0
		.amdhsa_system_sgpr_workgroup_id_x 1
		.amdhsa_system_sgpr_workgroup_id_y 0
		.amdhsa_system_sgpr_workgroup_id_z 0
		.amdhsa_system_sgpr_workgroup_info 0
		.amdhsa_system_vgpr_workitem_id 0
		.amdhsa_next_free_vgpr 3
		.amdhsa_next_free_sgpr 6
		.amdhsa_accum_offset 4
		.amdhsa_reserve_vcc 0
		.amdhsa_reserve_flat_scratch 0
		.amdhsa_float_round_mode_32 0
		.amdhsa_float_round_mode_16_64 0
		.amdhsa_float_denorm_mode_32 3
		.amdhsa_float_denorm_mode_16_64 3
		.amdhsa_dx10_clamp 1
		.amdhsa_ieee_mode 1
		.amdhsa_fp16_overflow 0
		.amdhsa_tg_split 0
		.amdhsa_exception_fp_ieee_invalid_op 0
		.amdhsa_exception_fp_denorm_src 0
		.amdhsa_exception_fp_ieee_div_zero 0
		.amdhsa_exception_fp_ieee_overflow 0
		.amdhsa_exception_fp_ieee_underflow 0
		.amdhsa_exception_fp_ieee_inexact 0
		.amdhsa_exception_int_div_zero 0
	.end_amdhsa_kernel
	.section	.text._Z20warp_exchange_kernelILj1024ELj1ELj8ELN6hipcub21WarpExchangeAlgorithmE1E18BlockedToStripedOpcEvPT4_S4_,"axG",@progbits,_Z20warp_exchange_kernelILj1024ELj1ELj8ELN6hipcub21WarpExchangeAlgorithmE1E18BlockedToStripedOpcEvPT4_S4_,comdat
.Lfunc_end159:
	.size	_Z20warp_exchange_kernelILj1024ELj1ELj8ELN6hipcub21WarpExchangeAlgorithmE1E18BlockedToStripedOpcEvPT4_S4_, .Lfunc_end159-_Z20warp_exchange_kernelILj1024ELj1ELj8ELN6hipcub21WarpExchangeAlgorithmE1E18BlockedToStripedOpcEvPT4_S4_
                                        ; -- End function
	.section	.AMDGPU.csdata,"",@progbits
; Kernel info:
; codeLenInByte = 68
; NumSgprs: 10
; NumVgprs: 3
; NumAgprs: 0
; TotalNumVgprs: 3
; ScratchSize: 0
; MemoryBound: 0
; FloatMode: 240
; IeeeMode: 1
; LDSByteSize: 0 bytes/workgroup (compile time only)
; SGPRBlocks: 1
; VGPRBlocks: 0
; NumSGPRsForWavesPerEU: 10
; NumVGPRsForWavesPerEU: 3
; AccumOffset: 4
; Occupancy: 8
; WaveLimiterHint : 0
; COMPUTE_PGM_RSRC2:SCRATCH_EN: 0
; COMPUTE_PGM_RSRC2:USER_SGPR: 6
; COMPUTE_PGM_RSRC2:TRAP_HANDLER: 0
; COMPUTE_PGM_RSRC2:TGID_X_EN: 1
; COMPUTE_PGM_RSRC2:TGID_Y_EN: 0
; COMPUTE_PGM_RSRC2:TGID_Z_EN: 0
; COMPUTE_PGM_RSRC2:TIDIG_COMP_CNT: 0
; COMPUTE_PGM_RSRC3_GFX90A:ACCUM_OFFSET: 0
; COMPUTE_PGM_RSRC3_GFX90A:TG_SPLIT: 0
	.section	.text._Z39warp_exchange_scatter_to_striped_kernelILj1024ELj4ELj64E6__halfiEvPT2_S2_PT3_,"axG",@progbits,_Z39warp_exchange_scatter_to_striped_kernelILj1024ELj4ELj64E6__halfiEvPT2_S2_PT3_,comdat
	.protected	_Z39warp_exchange_scatter_to_striped_kernelILj1024ELj4ELj64E6__halfiEvPT2_S2_PT3_ ; -- Begin function _Z39warp_exchange_scatter_to_striped_kernelILj1024ELj4ELj64E6__halfiEvPT2_S2_PT3_
	.globl	_Z39warp_exchange_scatter_to_striped_kernelILj1024ELj4ELj64E6__halfiEvPT2_S2_PT3_
	.p2align	8
	.type	_Z39warp_exchange_scatter_to_striped_kernelILj1024ELj4ELj64E6__halfiEvPT2_S2_PT3_,@function
_Z39warp_exchange_scatter_to_striped_kernelILj1024ELj4ELj64E6__halfiEvPT2_S2_PT3_: ; @_Z39warp_exchange_scatter_to_striped_kernelILj1024ELj4ELj64E6__halfiEvPT2_S2_PT3_
; %bb.0:
	s_load_dwordx2 s[6:7], s[4:5], 0x10
	s_load_dwordx4 s[0:3], s[4:5], 0x0
	v_lshlrev_b32_e32 v1, 4, v0
	v_lshlrev_b32_e32 v6, 3, v0
	v_mbcnt_lo_u32_b32 v7, -1, 0
	s_waitcnt lgkmcnt(0)
	global_load_dwordx4 v[2:5], v1, s[6:7]
	v_mbcnt_hi_u32_b32 v7, -1, v7
	global_load_dwordx2 v[0:1], v6, s[0:1]
	v_and_b32_e32 v8, 0x1e00, v6
	v_lshl_or_b32 v7, v7, 1, v8
	s_mov_b32 s0, 0x5040100
	s_waitcnt vmcnt(1)
	v_lshl_add_u32 v2, v2, 1, v8
	v_lshl_add_u32 v3, v3, 1, v8
	;; [unrolled: 1-line block ×4, first 2 shown]
	s_waitcnt vmcnt(0)
	ds_write_b16 v2, v0
	ds_write_b16_d16_hi v3, v0
	ds_write_b16 v4, v1
	ds_write_b16_d16_hi v5, v1
	; wave barrier
	ds_read_u16 v0, v7 offset:256
	ds_read_u16 v1, v7 offset:384
	ds_read_u16 v2, v7
	ds_read_u16 v3, v7 offset:128
	s_waitcnt lgkmcnt(2)
	v_perm_b32 v1, v1, v0, s0
	s_waitcnt lgkmcnt(0)
	v_perm_b32 v0, v3, v2, s0
	global_store_dwordx2 v6, v[0:1], s[2:3]
	s_endpgm
	.section	.rodata,"a",@progbits
	.p2align	6, 0x0
	.amdhsa_kernel _Z39warp_exchange_scatter_to_striped_kernelILj1024ELj4ELj64E6__halfiEvPT2_S2_PT3_
		.amdhsa_group_segment_fixed_size 8192
		.amdhsa_private_segment_fixed_size 0
		.amdhsa_kernarg_size 24
		.amdhsa_user_sgpr_count 6
		.amdhsa_user_sgpr_private_segment_buffer 1
		.amdhsa_user_sgpr_dispatch_ptr 0
		.amdhsa_user_sgpr_queue_ptr 0
		.amdhsa_user_sgpr_kernarg_segment_ptr 1
		.amdhsa_user_sgpr_dispatch_id 0
		.amdhsa_user_sgpr_flat_scratch_init 0
		.amdhsa_user_sgpr_kernarg_preload_length 0
		.amdhsa_user_sgpr_kernarg_preload_offset 0
		.amdhsa_user_sgpr_private_segment_size 0
		.amdhsa_uses_dynamic_stack 0
		.amdhsa_system_sgpr_private_segment_wavefront_offset 0
		.amdhsa_system_sgpr_workgroup_id_x 1
		.amdhsa_system_sgpr_workgroup_id_y 0
		.amdhsa_system_sgpr_workgroup_id_z 0
		.amdhsa_system_sgpr_workgroup_info 0
		.amdhsa_system_vgpr_workitem_id 0
		.amdhsa_next_free_vgpr 9
		.amdhsa_next_free_sgpr 8
		.amdhsa_accum_offset 12
		.amdhsa_reserve_vcc 0
		.amdhsa_reserve_flat_scratch 0
		.amdhsa_float_round_mode_32 0
		.amdhsa_float_round_mode_16_64 0
		.amdhsa_float_denorm_mode_32 3
		.amdhsa_float_denorm_mode_16_64 3
		.amdhsa_dx10_clamp 1
		.amdhsa_ieee_mode 1
		.amdhsa_fp16_overflow 0
		.amdhsa_tg_split 0
		.amdhsa_exception_fp_ieee_invalid_op 0
		.amdhsa_exception_fp_denorm_src 0
		.amdhsa_exception_fp_ieee_div_zero 0
		.amdhsa_exception_fp_ieee_overflow 0
		.amdhsa_exception_fp_ieee_underflow 0
		.amdhsa_exception_fp_ieee_inexact 0
		.amdhsa_exception_int_div_zero 0
	.end_amdhsa_kernel
	.section	.text._Z39warp_exchange_scatter_to_striped_kernelILj1024ELj4ELj64E6__halfiEvPT2_S2_PT3_,"axG",@progbits,_Z39warp_exchange_scatter_to_striped_kernelILj1024ELj4ELj64E6__halfiEvPT2_S2_PT3_,comdat
.Lfunc_end160:
	.size	_Z39warp_exchange_scatter_to_striped_kernelILj1024ELj4ELj64E6__halfiEvPT2_S2_PT3_, .Lfunc_end160-_Z39warp_exchange_scatter_to_striped_kernelILj1024ELj4ELj64E6__halfiEvPT2_S2_PT3_
                                        ; -- End function
	.section	.AMDGPU.csdata,"",@progbits
; Kernel info:
; codeLenInByte = 224
; NumSgprs: 12
; NumVgprs: 9
; NumAgprs: 0
; TotalNumVgprs: 9
; ScratchSize: 0
; MemoryBound: 0
; FloatMode: 240
; IeeeMode: 1
; LDSByteSize: 8192 bytes/workgroup (compile time only)
; SGPRBlocks: 1
; VGPRBlocks: 1
; NumSGPRsForWavesPerEU: 12
; NumVGPRsForWavesPerEU: 9
; AccumOffset: 12
; Occupancy: 8
; WaveLimiterHint : 0
; COMPUTE_PGM_RSRC2:SCRATCH_EN: 0
; COMPUTE_PGM_RSRC2:USER_SGPR: 6
; COMPUTE_PGM_RSRC2:TRAP_HANDLER: 0
; COMPUTE_PGM_RSRC2:TGID_X_EN: 1
; COMPUTE_PGM_RSRC2:TGID_Y_EN: 0
; COMPUTE_PGM_RSRC2:TGID_Z_EN: 0
; COMPUTE_PGM_RSRC2:TIDIG_COMP_CNT: 0
; COMPUTE_PGM_RSRC3_GFX90A:ACCUM_OFFSET: 2
; COMPUTE_PGM_RSRC3_GFX90A:TG_SPLIT: 0
	.section	.text._Z39warp_exchange_scatter_to_striped_kernelILj1024ELj4ELj32E6__halfiEvPT2_S2_PT3_,"axG",@progbits,_Z39warp_exchange_scatter_to_striped_kernelILj1024ELj4ELj32E6__halfiEvPT2_S2_PT3_,comdat
	.protected	_Z39warp_exchange_scatter_to_striped_kernelILj1024ELj4ELj32E6__halfiEvPT2_S2_PT3_ ; -- Begin function _Z39warp_exchange_scatter_to_striped_kernelILj1024ELj4ELj32E6__halfiEvPT2_S2_PT3_
	.globl	_Z39warp_exchange_scatter_to_striped_kernelILj1024ELj4ELj32E6__halfiEvPT2_S2_PT3_
	.p2align	8
	.type	_Z39warp_exchange_scatter_to_striped_kernelILj1024ELj4ELj32E6__halfiEvPT2_S2_PT3_,@function
_Z39warp_exchange_scatter_to_striped_kernelILj1024ELj4ELj32E6__halfiEvPT2_S2_PT3_: ; @_Z39warp_exchange_scatter_to_striped_kernelILj1024ELj4ELj32E6__halfiEvPT2_S2_PT3_
; %bb.0:
	s_load_dwordx2 s[6:7], s[4:5], 0x10
	s_load_dwordx4 s[0:3], s[4:5], 0x0
	v_lshlrev_b32_e32 v1, 4, v0
	v_lshlrev_b32_e32 v6, 3, v0
	v_mbcnt_lo_u32_b32 v7, -1, 0
	s_waitcnt lgkmcnt(0)
	global_load_dwordx4 v[2:5], v1, s[6:7]
	v_mbcnt_hi_u32_b32 v7, -1, v7
	global_load_dwordx2 v[0:1], v6, s[0:1]
	v_and_b32_e32 v8, 0x1f00, v6
	v_and_b32_e32 v7, 31, v7
	v_lshl_or_b32 v7, v7, 1, v8
	s_mov_b32 s0, 0x5040100
	s_waitcnt vmcnt(1)
	v_lshl_add_u32 v2, v2, 1, v8
	v_lshl_add_u32 v3, v3, 1, v8
	;; [unrolled: 1-line block ×4, first 2 shown]
	s_waitcnt vmcnt(0)
	ds_write_b16 v2, v0
	ds_write_b16_d16_hi v3, v0
	ds_write_b16 v4, v1
	ds_write_b16_d16_hi v5, v1
	; wave barrier
	ds_read_u16 v0, v7 offset:128
	ds_read_u16 v1, v7 offset:192
	ds_read_u16 v2, v7
	ds_read_u16 v3, v7 offset:64
	s_waitcnt lgkmcnt(2)
	v_perm_b32 v1, v1, v0, s0
	s_waitcnt lgkmcnt(0)
	v_perm_b32 v0, v3, v2, s0
	global_store_dwordx2 v6, v[0:1], s[2:3]
	s_endpgm
	.section	.rodata,"a",@progbits
	.p2align	6, 0x0
	.amdhsa_kernel _Z39warp_exchange_scatter_to_striped_kernelILj1024ELj4ELj32E6__halfiEvPT2_S2_PT3_
		.amdhsa_group_segment_fixed_size 8192
		.amdhsa_private_segment_fixed_size 0
		.amdhsa_kernarg_size 24
		.amdhsa_user_sgpr_count 6
		.amdhsa_user_sgpr_private_segment_buffer 1
		.amdhsa_user_sgpr_dispatch_ptr 0
		.amdhsa_user_sgpr_queue_ptr 0
		.amdhsa_user_sgpr_kernarg_segment_ptr 1
		.amdhsa_user_sgpr_dispatch_id 0
		.amdhsa_user_sgpr_flat_scratch_init 0
		.amdhsa_user_sgpr_kernarg_preload_length 0
		.amdhsa_user_sgpr_kernarg_preload_offset 0
		.amdhsa_user_sgpr_private_segment_size 0
		.amdhsa_uses_dynamic_stack 0
		.amdhsa_system_sgpr_private_segment_wavefront_offset 0
		.amdhsa_system_sgpr_workgroup_id_x 1
		.amdhsa_system_sgpr_workgroup_id_y 0
		.amdhsa_system_sgpr_workgroup_id_z 0
		.amdhsa_system_sgpr_workgroup_info 0
		.amdhsa_system_vgpr_workitem_id 0
		.amdhsa_next_free_vgpr 9
		.amdhsa_next_free_sgpr 8
		.amdhsa_accum_offset 12
		.amdhsa_reserve_vcc 0
		.amdhsa_reserve_flat_scratch 0
		.amdhsa_float_round_mode_32 0
		.amdhsa_float_round_mode_16_64 0
		.amdhsa_float_denorm_mode_32 3
		.amdhsa_float_denorm_mode_16_64 3
		.amdhsa_dx10_clamp 1
		.amdhsa_ieee_mode 1
		.amdhsa_fp16_overflow 0
		.amdhsa_tg_split 0
		.amdhsa_exception_fp_ieee_invalid_op 0
		.amdhsa_exception_fp_denorm_src 0
		.amdhsa_exception_fp_ieee_div_zero 0
		.amdhsa_exception_fp_ieee_overflow 0
		.amdhsa_exception_fp_ieee_underflow 0
		.amdhsa_exception_fp_ieee_inexact 0
		.amdhsa_exception_int_div_zero 0
	.end_amdhsa_kernel
	.section	.text._Z39warp_exchange_scatter_to_striped_kernelILj1024ELj4ELj32E6__halfiEvPT2_S2_PT3_,"axG",@progbits,_Z39warp_exchange_scatter_to_striped_kernelILj1024ELj4ELj32E6__halfiEvPT2_S2_PT3_,comdat
.Lfunc_end161:
	.size	_Z39warp_exchange_scatter_to_striped_kernelILj1024ELj4ELj32E6__halfiEvPT2_S2_PT3_, .Lfunc_end161-_Z39warp_exchange_scatter_to_striped_kernelILj1024ELj4ELj32E6__halfiEvPT2_S2_PT3_
                                        ; -- End function
	.section	.AMDGPU.csdata,"",@progbits
; Kernel info:
; codeLenInByte = 228
; NumSgprs: 12
; NumVgprs: 9
; NumAgprs: 0
; TotalNumVgprs: 9
; ScratchSize: 0
; MemoryBound: 0
; FloatMode: 240
; IeeeMode: 1
; LDSByteSize: 8192 bytes/workgroup (compile time only)
; SGPRBlocks: 1
; VGPRBlocks: 1
; NumSGPRsForWavesPerEU: 12
; NumVGPRsForWavesPerEU: 9
; AccumOffset: 12
; Occupancy: 8
; WaveLimiterHint : 0
; COMPUTE_PGM_RSRC2:SCRATCH_EN: 0
; COMPUTE_PGM_RSRC2:USER_SGPR: 6
; COMPUTE_PGM_RSRC2:TRAP_HANDLER: 0
; COMPUTE_PGM_RSRC2:TGID_X_EN: 1
; COMPUTE_PGM_RSRC2:TGID_Y_EN: 0
; COMPUTE_PGM_RSRC2:TGID_Z_EN: 0
; COMPUTE_PGM_RSRC2:TIDIG_COMP_CNT: 0
; COMPUTE_PGM_RSRC3_GFX90A:ACCUM_OFFSET: 2
; COMPUTE_PGM_RSRC3_GFX90A:TG_SPLIT: 0
	.section	.text._Z39warp_exchange_scatter_to_striped_kernelILj1024ELj4ELj16E6__halfiEvPT2_S2_PT3_,"axG",@progbits,_Z39warp_exchange_scatter_to_striped_kernelILj1024ELj4ELj16E6__halfiEvPT2_S2_PT3_,comdat
	.protected	_Z39warp_exchange_scatter_to_striped_kernelILj1024ELj4ELj16E6__halfiEvPT2_S2_PT3_ ; -- Begin function _Z39warp_exchange_scatter_to_striped_kernelILj1024ELj4ELj16E6__halfiEvPT2_S2_PT3_
	.globl	_Z39warp_exchange_scatter_to_striped_kernelILj1024ELj4ELj16E6__halfiEvPT2_S2_PT3_
	.p2align	8
	.type	_Z39warp_exchange_scatter_to_striped_kernelILj1024ELj4ELj16E6__halfiEvPT2_S2_PT3_,@function
_Z39warp_exchange_scatter_to_striped_kernelILj1024ELj4ELj16E6__halfiEvPT2_S2_PT3_: ; @_Z39warp_exchange_scatter_to_striped_kernelILj1024ELj4ELj16E6__halfiEvPT2_S2_PT3_
; %bb.0:
	s_load_dwordx2 s[6:7], s[4:5], 0x10
	s_load_dwordx4 s[0:3], s[4:5], 0x0
	v_lshlrev_b32_e32 v1, 4, v0
	v_lshlrev_b32_e32 v6, 3, v0
	v_mbcnt_lo_u32_b32 v7, -1, 0
	s_waitcnt lgkmcnt(0)
	global_load_dwordx4 v[2:5], v1, s[6:7]
	v_mbcnt_hi_u32_b32 v7, -1, v7
	global_load_dwordx2 v[0:1], v6, s[0:1]
	v_and_b32_e32 v8, 0x1f80, v6
	v_and_b32_e32 v7, 15, v7
	v_lshl_or_b32 v7, v7, 1, v8
	s_mov_b32 s0, 0x5040100
	s_waitcnt vmcnt(1)
	v_lshl_add_u32 v2, v2, 1, v8
	v_lshl_add_u32 v3, v3, 1, v8
	;; [unrolled: 1-line block ×4, first 2 shown]
	s_waitcnt vmcnt(0)
	ds_write_b16 v2, v0
	ds_write_b16_d16_hi v3, v0
	ds_write_b16 v4, v1
	ds_write_b16_d16_hi v5, v1
	; wave barrier
	ds_read_u16 v0, v7 offset:64
	ds_read_u16 v1, v7 offset:96
	ds_read_u16 v2, v7
	ds_read_u16 v3, v7 offset:32
	s_waitcnt lgkmcnt(2)
	v_perm_b32 v1, v1, v0, s0
	s_waitcnt lgkmcnt(0)
	v_perm_b32 v0, v3, v2, s0
	global_store_dwordx2 v6, v[0:1], s[2:3]
	s_endpgm
	.section	.rodata,"a",@progbits
	.p2align	6, 0x0
	.amdhsa_kernel _Z39warp_exchange_scatter_to_striped_kernelILj1024ELj4ELj16E6__halfiEvPT2_S2_PT3_
		.amdhsa_group_segment_fixed_size 8192
		.amdhsa_private_segment_fixed_size 0
		.amdhsa_kernarg_size 24
		.amdhsa_user_sgpr_count 6
		.amdhsa_user_sgpr_private_segment_buffer 1
		.amdhsa_user_sgpr_dispatch_ptr 0
		.amdhsa_user_sgpr_queue_ptr 0
		.amdhsa_user_sgpr_kernarg_segment_ptr 1
		.amdhsa_user_sgpr_dispatch_id 0
		.amdhsa_user_sgpr_flat_scratch_init 0
		.amdhsa_user_sgpr_kernarg_preload_length 0
		.amdhsa_user_sgpr_kernarg_preload_offset 0
		.amdhsa_user_sgpr_private_segment_size 0
		.amdhsa_uses_dynamic_stack 0
		.amdhsa_system_sgpr_private_segment_wavefront_offset 0
		.amdhsa_system_sgpr_workgroup_id_x 1
		.amdhsa_system_sgpr_workgroup_id_y 0
		.amdhsa_system_sgpr_workgroup_id_z 0
		.amdhsa_system_sgpr_workgroup_info 0
		.amdhsa_system_vgpr_workitem_id 0
		.amdhsa_next_free_vgpr 9
		.amdhsa_next_free_sgpr 8
		.amdhsa_accum_offset 12
		.amdhsa_reserve_vcc 0
		.amdhsa_reserve_flat_scratch 0
		.amdhsa_float_round_mode_32 0
		.amdhsa_float_round_mode_16_64 0
		.amdhsa_float_denorm_mode_32 3
		.amdhsa_float_denorm_mode_16_64 3
		.amdhsa_dx10_clamp 1
		.amdhsa_ieee_mode 1
		.amdhsa_fp16_overflow 0
		.amdhsa_tg_split 0
		.amdhsa_exception_fp_ieee_invalid_op 0
		.amdhsa_exception_fp_denorm_src 0
		.amdhsa_exception_fp_ieee_div_zero 0
		.amdhsa_exception_fp_ieee_overflow 0
		.amdhsa_exception_fp_ieee_underflow 0
		.amdhsa_exception_fp_ieee_inexact 0
		.amdhsa_exception_int_div_zero 0
	.end_amdhsa_kernel
	.section	.text._Z39warp_exchange_scatter_to_striped_kernelILj1024ELj4ELj16E6__halfiEvPT2_S2_PT3_,"axG",@progbits,_Z39warp_exchange_scatter_to_striped_kernelILj1024ELj4ELj16E6__halfiEvPT2_S2_PT3_,comdat
.Lfunc_end162:
	.size	_Z39warp_exchange_scatter_to_striped_kernelILj1024ELj4ELj16E6__halfiEvPT2_S2_PT3_, .Lfunc_end162-_Z39warp_exchange_scatter_to_striped_kernelILj1024ELj4ELj16E6__halfiEvPT2_S2_PT3_
                                        ; -- End function
	.section	.AMDGPU.csdata,"",@progbits
; Kernel info:
; codeLenInByte = 228
; NumSgprs: 12
; NumVgprs: 9
; NumAgprs: 0
; TotalNumVgprs: 9
; ScratchSize: 0
; MemoryBound: 0
; FloatMode: 240
; IeeeMode: 1
; LDSByteSize: 8192 bytes/workgroup (compile time only)
; SGPRBlocks: 1
; VGPRBlocks: 1
; NumSGPRsForWavesPerEU: 12
; NumVGPRsForWavesPerEU: 9
; AccumOffset: 12
; Occupancy: 8
; WaveLimiterHint : 0
; COMPUTE_PGM_RSRC2:SCRATCH_EN: 0
; COMPUTE_PGM_RSRC2:USER_SGPR: 6
; COMPUTE_PGM_RSRC2:TRAP_HANDLER: 0
; COMPUTE_PGM_RSRC2:TGID_X_EN: 1
; COMPUTE_PGM_RSRC2:TGID_Y_EN: 0
; COMPUTE_PGM_RSRC2:TGID_Z_EN: 0
; COMPUTE_PGM_RSRC2:TIDIG_COMP_CNT: 0
; COMPUTE_PGM_RSRC3_GFX90A:ACCUM_OFFSET: 2
; COMPUTE_PGM_RSRC3_GFX90A:TG_SPLIT: 0
	.section	.text._Z39warp_exchange_scatter_to_striped_kernelILj1024ELj4ELj8E6__halfiEvPT2_S2_PT3_,"axG",@progbits,_Z39warp_exchange_scatter_to_striped_kernelILj1024ELj4ELj8E6__halfiEvPT2_S2_PT3_,comdat
	.protected	_Z39warp_exchange_scatter_to_striped_kernelILj1024ELj4ELj8E6__halfiEvPT2_S2_PT3_ ; -- Begin function _Z39warp_exchange_scatter_to_striped_kernelILj1024ELj4ELj8E6__halfiEvPT2_S2_PT3_
	.globl	_Z39warp_exchange_scatter_to_striped_kernelILj1024ELj4ELj8E6__halfiEvPT2_S2_PT3_
	.p2align	8
	.type	_Z39warp_exchange_scatter_to_striped_kernelILj1024ELj4ELj8E6__halfiEvPT2_S2_PT3_,@function
_Z39warp_exchange_scatter_to_striped_kernelILj1024ELj4ELj8E6__halfiEvPT2_S2_PT3_: ; @_Z39warp_exchange_scatter_to_striped_kernelILj1024ELj4ELj8E6__halfiEvPT2_S2_PT3_
; %bb.0:
	s_load_dwordx2 s[6:7], s[4:5], 0x10
	s_load_dwordx4 s[0:3], s[4:5], 0x0
	v_lshlrev_b32_e32 v1, 4, v0
	v_lshlrev_b32_e32 v6, 3, v0
	v_mbcnt_lo_u32_b32 v7, -1, 0
	s_waitcnt lgkmcnt(0)
	global_load_dwordx4 v[2:5], v1, s[6:7]
	v_mbcnt_hi_u32_b32 v7, -1, v7
	global_load_dwordx2 v[0:1], v6, s[0:1]
	v_and_b32_e32 v8, 0x1fc0, v6
	v_and_b32_e32 v7, 7, v7
	v_lshl_or_b32 v7, v7, 1, v8
	s_mov_b32 s0, 0x5040100
	s_waitcnt vmcnt(1)
	v_lshl_add_u32 v2, v2, 1, v8
	v_lshl_add_u32 v3, v3, 1, v8
	v_lshl_add_u32 v4, v4, 1, v8
	v_lshl_add_u32 v5, v5, 1, v8
	s_waitcnt vmcnt(0)
	ds_write_b16 v2, v0
	ds_write_b16_d16_hi v3, v0
	ds_write_b16 v4, v1
	ds_write_b16_d16_hi v5, v1
	; wave barrier
	ds_read_u16 v0, v7 offset:32
	ds_read_u16 v1, v7 offset:48
	ds_read_u16 v2, v7
	ds_read_u16 v3, v7 offset:16
	s_waitcnt lgkmcnt(2)
	v_perm_b32 v1, v1, v0, s0
	s_waitcnt lgkmcnt(0)
	v_perm_b32 v0, v3, v2, s0
	global_store_dwordx2 v6, v[0:1], s[2:3]
	s_endpgm
	.section	.rodata,"a",@progbits
	.p2align	6, 0x0
	.amdhsa_kernel _Z39warp_exchange_scatter_to_striped_kernelILj1024ELj4ELj8E6__halfiEvPT2_S2_PT3_
		.amdhsa_group_segment_fixed_size 8192
		.amdhsa_private_segment_fixed_size 0
		.amdhsa_kernarg_size 24
		.amdhsa_user_sgpr_count 6
		.amdhsa_user_sgpr_private_segment_buffer 1
		.amdhsa_user_sgpr_dispatch_ptr 0
		.amdhsa_user_sgpr_queue_ptr 0
		.amdhsa_user_sgpr_kernarg_segment_ptr 1
		.amdhsa_user_sgpr_dispatch_id 0
		.amdhsa_user_sgpr_flat_scratch_init 0
		.amdhsa_user_sgpr_kernarg_preload_length 0
		.amdhsa_user_sgpr_kernarg_preload_offset 0
		.amdhsa_user_sgpr_private_segment_size 0
		.amdhsa_uses_dynamic_stack 0
		.amdhsa_system_sgpr_private_segment_wavefront_offset 0
		.amdhsa_system_sgpr_workgroup_id_x 1
		.amdhsa_system_sgpr_workgroup_id_y 0
		.amdhsa_system_sgpr_workgroup_id_z 0
		.amdhsa_system_sgpr_workgroup_info 0
		.amdhsa_system_vgpr_workitem_id 0
		.amdhsa_next_free_vgpr 9
		.amdhsa_next_free_sgpr 8
		.amdhsa_accum_offset 12
		.amdhsa_reserve_vcc 0
		.amdhsa_reserve_flat_scratch 0
		.amdhsa_float_round_mode_32 0
		.amdhsa_float_round_mode_16_64 0
		.amdhsa_float_denorm_mode_32 3
		.amdhsa_float_denorm_mode_16_64 3
		.amdhsa_dx10_clamp 1
		.amdhsa_ieee_mode 1
		.amdhsa_fp16_overflow 0
		.amdhsa_tg_split 0
		.amdhsa_exception_fp_ieee_invalid_op 0
		.amdhsa_exception_fp_denorm_src 0
		.amdhsa_exception_fp_ieee_div_zero 0
		.amdhsa_exception_fp_ieee_overflow 0
		.amdhsa_exception_fp_ieee_underflow 0
		.amdhsa_exception_fp_ieee_inexact 0
		.amdhsa_exception_int_div_zero 0
	.end_amdhsa_kernel
	.section	.text._Z39warp_exchange_scatter_to_striped_kernelILj1024ELj4ELj8E6__halfiEvPT2_S2_PT3_,"axG",@progbits,_Z39warp_exchange_scatter_to_striped_kernelILj1024ELj4ELj8E6__halfiEvPT2_S2_PT3_,comdat
.Lfunc_end163:
	.size	_Z39warp_exchange_scatter_to_striped_kernelILj1024ELj4ELj8E6__halfiEvPT2_S2_PT3_, .Lfunc_end163-_Z39warp_exchange_scatter_to_striped_kernelILj1024ELj4ELj8E6__halfiEvPT2_S2_PT3_
                                        ; -- End function
	.section	.AMDGPU.csdata,"",@progbits
; Kernel info:
; codeLenInByte = 228
; NumSgprs: 12
; NumVgprs: 9
; NumAgprs: 0
; TotalNumVgprs: 9
; ScratchSize: 0
; MemoryBound: 0
; FloatMode: 240
; IeeeMode: 1
; LDSByteSize: 8192 bytes/workgroup (compile time only)
; SGPRBlocks: 1
; VGPRBlocks: 1
; NumSGPRsForWavesPerEU: 12
; NumVGPRsForWavesPerEU: 9
; AccumOffset: 12
; Occupancy: 8
; WaveLimiterHint : 0
; COMPUTE_PGM_RSRC2:SCRATCH_EN: 0
; COMPUTE_PGM_RSRC2:USER_SGPR: 6
; COMPUTE_PGM_RSRC2:TRAP_HANDLER: 0
; COMPUTE_PGM_RSRC2:TGID_X_EN: 1
; COMPUTE_PGM_RSRC2:TGID_Y_EN: 0
; COMPUTE_PGM_RSRC2:TGID_Z_EN: 0
; COMPUTE_PGM_RSRC2:TIDIG_COMP_CNT: 0
; COMPUTE_PGM_RSRC3_GFX90A:ACCUM_OFFSET: 2
; COMPUTE_PGM_RSRC3_GFX90A:TG_SPLIT: 0
	.section	.text._Z39warp_exchange_scatter_to_striped_kernelILj1024ELj4ELj64EdiEvPT2_S1_PT3_,"axG",@progbits,_Z39warp_exchange_scatter_to_striped_kernelILj1024ELj4ELj64EdiEvPT2_S1_PT3_,comdat
	.protected	_Z39warp_exchange_scatter_to_striped_kernelILj1024ELj4ELj64EdiEvPT2_S1_PT3_ ; -- Begin function _Z39warp_exchange_scatter_to_striped_kernelILj1024ELj4ELj64EdiEvPT2_S1_PT3_
	.globl	_Z39warp_exchange_scatter_to_striped_kernelILj1024ELj4ELj64EdiEvPT2_S1_PT3_
	.p2align	8
	.type	_Z39warp_exchange_scatter_to_striped_kernelILj1024ELj4ELj64EdiEvPT2_S1_PT3_,@function
_Z39warp_exchange_scatter_to_striped_kernelILj1024ELj4ELj64EdiEvPT2_S1_PT3_: ; @_Z39warp_exchange_scatter_to_striped_kernelILj1024ELj4ELj64EdiEvPT2_S1_PT3_
; %bb.0:
	s_load_dwordx2 s[6:7], s[4:5], 0x10
	s_load_dwordx4 s[0:3], s[4:5], 0x0
	v_lshlrev_b32_e32 v1, 4, v0
	v_lshlrev_b32_e32 v14, 5, v0
	v_mbcnt_lo_u32_b32 v0, -1, 0
	s_waitcnt lgkmcnt(0)
	global_load_dwordx4 v[2:5], v1, s[6:7]
	global_load_dwordx4 v[6:9], v14, s[0:1]
	global_load_dwordx4 v[10:13], v14, s[0:1] offset:16
	v_mbcnt_hi_u32_b32 v0, -1, v0
	v_and_b32_e32 v1, 0x7800, v14
	v_lshl_or_b32 v15, v0, 3, v1
	s_waitcnt vmcnt(2)
	v_lshl_add_u32 v0, v2, 3, v1
	v_lshl_add_u32 v2, v3, 3, v1
	v_lshl_add_u32 v3, v4, 3, v1
	v_lshl_add_u32 v1, v5, 3, v1
	s_waitcnt vmcnt(1)
	ds_write_b64 v0, v[6:7]
	ds_write_b64 v2, v[8:9]
	s_waitcnt vmcnt(0)
	ds_write_b64 v3, v[10:11]
	ds_write_b64 v1, v[12:13]
	; wave barrier
	ds_read2st64_b64 v[0:3], v15 offset1:1
	ds_read2st64_b64 v[4:7], v15 offset0:2 offset1:3
	s_waitcnt lgkmcnt(1)
	global_store_dwordx4 v14, v[0:3], s[2:3]
	s_waitcnt lgkmcnt(0)
	global_store_dwordx4 v14, v[4:7], s[2:3] offset:16
	s_endpgm
	.section	.rodata,"a",@progbits
	.p2align	6, 0x0
	.amdhsa_kernel _Z39warp_exchange_scatter_to_striped_kernelILj1024ELj4ELj64EdiEvPT2_S1_PT3_
		.amdhsa_group_segment_fixed_size 32768
		.amdhsa_private_segment_fixed_size 0
		.amdhsa_kernarg_size 24
		.amdhsa_user_sgpr_count 6
		.amdhsa_user_sgpr_private_segment_buffer 1
		.amdhsa_user_sgpr_dispatch_ptr 0
		.amdhsa_user_sgpr_queue_ptr 0
		.amdhsa_user_sgpr_kernarg_segment_ptr 1
		.amdhsa_user_sgpr_dispatch_id 0
		.amdhsa_user_sgpr_flat_scratch_init 0
		.amdhsa_user_sgpr_kernarg_preload_length 0
		.amdhsa_user_sgpr_kernarg_preload_offset 0
		.amdhsa_user_sgpr_private_segment_size 0
		.amdhsa_uses_dynamic_stack 0
		.amdhsa_system_sgpr_private_segment_wavefront_offset 0
		.amdhsa_system_sgpr_workgroup_id_x 1
		.amdhsa_system_sgpr_workgroup_id_y 0
		.amdhsa_system_sgpr_workgroup_id_z 0
		.amdhsa_system_sgpr_workgroup_info 0
		.amdhsa_system_vgpr_workitem_id 0
		.amdhsa_next_free_vgpr 16
		.amdhsa_next_free_sgpr 8
		.amdhsa_accum_offset 16
		.amdhsa_reserve_vcc 0
		.amdhsa_reserve_flat_scratch 0
		.amdhsa_float_round_mode_32 0
		.amdhsa_float_round_mode_16_64 0
		.amdhsa_float_denorm_mode_32 3
		.amdhsa_float_denorm_mode_16_64 3
		.amdhsa_dx10_clamp 1
		.amdhsa_ieee_mode 1
		.amdhsa_fp16_overflow 0
		.amdhsa_tg_split 0
		.amdhsa_exception_fp_ieee_invalid_op 0
		.amdhsa_exception_fp_denorm_src 0
		.amdhsa_exception_fp_ieee_div_zero 0
		.amdhsa_exception_fp_ieee_overflow 0
		.amdhsa_exception_fp_ieee_underflow 0
		.amdhsa_exception_fp_ieee_inexact 0
		.amdhsa_exception_int_div_zero 0
	.end_amdhsa_kernel
	.section	.text._Z39warp_exchange_scatter_to_striped_kernelILj1024ELj4ELj64EdiEvPT2_S1_PT3_,"axG",@progbits,_Z39warp_exchange_scatter_to_striped_kernelILj1024ELj4ELj64EdiEvPT2_S1_PT3_,comdat
.Lfunc_end164:
	.size	_Z39warp_exchange_scatter_to_striped_kernelILj1024ELj4ELj64EdiEvPT2_S1_PT3_, .Lfunc_end164-_Z39warp_exchange_scatter_to_striped_kernelILj1024ELj4ELj64EdiEvPT2_S1_PT3_
                                        ; -- End function
	.section	.AMDGPU.csdata,"",@progbits
; Kernel info:
; codeLenInByte = 204
; NumSgprs: 12
; NumVgprs: 16
; NumAgprs: 0
; TotalNumVgprs: 16
; ScratchSize: 0
; MemoryBound: 1
; FloatMode: 240
; IeeeMode: 1
; LDSByteSize: 32768 bytes/workgroup (compile time only)
; SGPRBlocks: 1
; VGPRBlocks: 1
; NumSGPRsForWavesPerEU: 12
; NumVGPRsForWavesPerEU: 16
; AccumOffset: 16
; Occupancy: 8
; WaveLimiterHint : 1
; COMPUTE_PGM_RSRC2:SCRATCH_EN: 0
; COMPUTE_PGM_RSRC2:USER_SGPR: 6
; COMPUTE_PGM_RSRC2:TRAP_HANDLER: 0
; COMPUTE_PGM_RSRC2:TGID_X_EN: 1
; COMPUTE_PGM_RSRC2:TGID_Y_EN: 0
; COMPUTE_PGM_RSRC2:TGID_Z_EN: 0
; COMPUTE_PGM_RSRC2:TIDIG_COMP_CNT: 0
; COMPUTE_PGM_RSRC3_GFX90A:ACCUM_OFFSET: 3
; COMPUTE_PGM_RSRC3_GFX90A:TG_SPLIT: 0
	.section	.text._Z39warp_exchange_scatter_to_striped_kernelILj1024ELj4ELj32EdiEvPT2_S1_PT3_,"axG",@progbits,_Z39warp_exchange_scatter_to_striped_kernelILj1024ELj4ELj32EdiEvPT2_S1_PT3_,comdat
	.protected	_Z39warp_exchange_scatter_to_striped_kernelILj1024ELj4ELj32EdiEvPT2_S1_PT3_ ; -- Begin function _Z39warp_exchange_scatter_to_striped_kernelILj1024ELj4ELj32EdiEvPT2_S1_PT3_
	.globl	_Z39warp_exchange_scatter_to_striped_kernelILj1024ELj4ELj32EdiEvPT2_S1_PT3_
	.p2align	8
	.type	_Z39warp_exchange_scatter_to_striped_kernelILj1024ELj4ELj32EdiEvPT2_S1_PT3_,@function
_Z39warp_exchange_scatter_to_striped_kernelILj1024ELj4ELj32EdiEvPT2_S1_PT3_: ; @_Z39warp_exchange_scatter_to_striped_kernelILj1024ELj4ELj32EdiEvPT2_S1_PT3_
; %bb.0:
	s_load_dwordx2 s[6:7], s[4:5], 0x10
	s_load_dwordx4 s[0:3], s[4:5], 0x0
	v_lshlrev_b32_e32 v1, 4, v0
	v_lshlrev_b32_e32 v14, 5, v0
	v_mbcnt_lo_u32_b32 v0, -1, 0
	s_waitcnt lgkmcnt(0)
	global_load_dwordx4 v[2:5], v1, s[6:7]
	global_load_dwordx4 v[6:9], v14, s[0:1]
	global_load_dwordx4 v[10:13], v14, s[0:1] offset:16
	v_mbcnt_hi_u32_b32 v0, -1, v0
	v_and_b32_e32 v1, 0x7c00, v14
	v_and_b32_e32 v0, 31, v0
	v_lshl_or_b32 v15, v0, 3, v1
	s_waitcnt vmcnt(2)
	v_lshl_add_u32 v0, v2, 3, v1
	v_lshl_add_u32 v2, v3, 3, v1
	;; [unrolled: 1-line block ×4, first 2 shown]
	s_waitcnt vmcnt(1)
	ds_write_b64 v0, v[6:7]
	ds_write_b64 v2, v[8:9]
	s_waitcnt vmcnt(0)
	ds_write_b64 v3, v[10:11]
	ds_write_b64 v1, v[12:13]
	; wave barrier
	ds_read2_b64 v[0:3], v15 offset1:32
	ds_read2_b64 v[4:7], v15 offset0:64 offset1:96
	s_waitcnt lgkmcnt(1)
	global_store_dwordx4 v14, v[0:3], s[2:3]
	s_waitcnt lgkmcnt(0)
	global_store_dwordx4 v14, v[4:7], s[2:3] offset:16
	s_endpgm
	.section	.rodata,"a",@progbits
	.p2align	6, 0x0
	.amdhsa_kernel _Z39warp_exchange_scatter_to_striped_kernelILj1024ELj4ELj32EdiEvPT2_S1_PT3_
		.amdhsa_group_segment_fixed_size 32768
		.amdhsa_private_segment_fixed_size 0
		.amdhsa_kernarg_size 24
		.amdhsa_user_sgpr_count 6
		.amdhsa_user_sgpr_private_segment_buffer 1
		.amdhsa_user_sgpr_dispatch_ptr 0
		.amdhsa_user_sgpr_queue_ptr 0
		.amdhsa_user_sgpr_kernarg_segment_ptr 1
		.amdhsa_user_sgpr_dispatch_id 0
		.amdhsa_user_sgpr_flat_scratch_init 0
		.amdhsa_user_sgpr_kernarg_preload_length 0
		.amdhsa_user_sgpr_kernarg_preload_offset 0
		.amdhsa_user_sgpr_private_segment_size 0
		.amdhsa_uses_dynamic_stack 0
		.amdhsa_system_sgpr_private_segment_wavefront_offset 0
		.amdhsa_system_sgpr_workgroup_id_x 1
		.amdhsa_system_sgpr_workgroup_id_y 0
		.amdhsa_system_sgpr_workgroup_id_z 0
		.amdhsa_system_sgpr_workgroup_info 0
		.amdhsa_system_vgpr_workitem_id 0
		.amdhsa_next_free_vgpr 16
		.amdhsa_next_free_sgpr 8
		.amdhsa_accum_offset 16
		.amdhsa_reserve_vcc 0
		.amdhsa_reserve_flat_scratch 0
		.amdhsa_float_round_mode_32 0
		.amdhsa_float_round_mode_16_64 0
		.amdhsa_float_denorm_mode_32 3
		.amdhsa_float_denorm_mode_16_64 3
		.amdhsa_dx10_clamp 1
		.amdhsa_ieee_mode 1
		.amdhsa_fp16_overflow 0
		.amdhsa_tg_split 0
		.amdhsa_exception_fp_ieee_invalid_op 0
		.amdhsa_exception_fp_denorm_src 0
		.amdhsa_exception_fp_ieee_div_zero 0
		.amdhsa_exception_fp_ieee_overflow 0
		.amdhsa_exception_fp_ieee_underflow 0
		.amdhsa_exception_fp_ieee_inexact 0
		.amdhsa_exception_int_div_zero 0
	.end_amdhsa_kernel
	.section	.text._Z39warp_exchange_scatter_to_striped_kernelILj1024ELj4ELj32EdiEvPT2_S1_PT3_,"axG",@progbits,_Z39warp_exchange_scatter_to_striped_kernelILj1024ELj4ELj32EdiEvPT2_S1_PT3_,comdat
.Lfunc_end165:
	.size	_Z39warp_exchange_scatter_to_striped_kernelILj1024ELj4ELj32EdiEvPT2_S1_PT3_, .Lfunc_end165-_Z39warp_exchange_scatter_to_striped_kernelILj1024ELj4ELj32EdiEvPT2_S1_PT3_
                                        ; -- End function
	.section	.AMDGPU.csdata,"",@progbits
; Kernel info:
; codeLenInByte = 208
; NumSgprs: 12
; NumVgprs: 16
; NumAgprs: 0
; TotalNumVgprs: 16
; ScratchSize: 0
; MemoryBound: 1
; FloatMode: 240
; IeeeMode: 1
; LDSByteSize: 32768 bytes/workgroup (compile time only)
; SGPRBlocks: 1
; VGPRBlocks: 1
; NumSGPRsForWavesPerEU: 12
; NumVGPRsForWavesPerEU: 16
; AccumOffset: 16
; Occupancy: 8
; WaveLimiterHint : 1
; COMPUTE_PGM_RSRC2:SCRATCH_EN: 0
; COMPUTE_PGM_RSRC2:USER_SGPR: 6
; COMPUTE_PGM_RSRC2:TRAP_HANDLER: 0
; COMPUTE_PGM_RSRC2:TGID_X_EN: 1
; COMPUTE_PGM_RSRC2:TGID_Y_EN: 0
; COMPUTE_PGM_RSRC2:TGID_Z_EN: 0
; COMPUTE_PGM_RSRC2:TIDIG_COMP_CNT: 0
; COMPUTE_PGM_RSRC3_GFX90A:ACCUM_OFFSET: 3
; COMPUTE_PGM_RSRC3_GFX90A:TG_SPLIT: 0
	.section	.text._Z39warp_exchange_scatter_to_striped_kernelILj1024ELj4ELj16EdiEvPT2_S1_PT3_,"axG",@progbits,_Z39warp_exchange_scatter_to_striped_kernelILj1024ELj4ELj16EdiEvPT2_S1_PT3_,comdat
	.protected	_Z39warp_exchange_scatter_to_striped_kernelILj1024ELj4ELj16EdiEvPT2_S1_PT3_ ; -- Begin function _Z39warp_exchange_scatter_to_striped_kernelILj1024ELj4ELj16EdiEvPT2_S1_PT3_
	.globl	_Z39warp_exchange_scatter_to_striped_kernelILj1024ELj4ELj16EdiEvPT2_S1_PT3_
	.p2align	8
	.type	_Z39warp_exchange_scatter_to_striped_kernelILj1024ELj4ELj16EdiEvPT2_S1_PT3_,@function
_Z39warp_exchange_scatter_to_striped_kernelILj1024ELj4ELj16EdiEvPT2_S1_PT3_: ; @_Z39warp_exchange_scatter_to_striped_kernelILj1024ELj4ELj16EdiEvPT2_S1_PT3_
; %bb.0:
	s_load_dwordx2 s[6:7], s[4:5], 0x10
	s_load_dwordx4 s[0:3], s[4:5], 0x0
	v_lshlrev_b32_e32 v1, 4, v0
	v_lshlrev_b32_e32 v14, 5, v0
	v_mbcnt_lo_u32_b32 v0, -1, 0
	s_waitcnt lgkmcnt(0)
	global_load_dwordx4 v[2:5], v1, s[6:7]
	global_load_dwordx4 v[6:9], v14, s[0:1]
	global_load_dwordx4 v[10:13], v14, s[0:1] offset:16
	v_mbcnt_hi_u32_b32 v0, -1, v0
	v_and_b32_e32 v1, 0x7e00, v14
	v_and_b32_e32 v0, 15, v0
	v_lshl_or_b32 v15, v0, 3, v1
	s_waitcnt vmcnt(2)
	v_lshl_add_u32 v0, v2, 3, v1
	v_lshl_add_u32 v2, v3, 3, v1
	;; [unrolled: 1-line block ×4, first 2 shown]
	s_waitcnt vmcnt(1)
	ds_write_b64 v0, v[6:7]
	ds_write_b64 v2, v[8:9]
	s_waitcnt vmcnt(0)
	ds_write_b64 v3, v[10:11]
	ds_write_b64 v1, v[12:13]
	; wave barrier
	ds_read2_b64 v[0:3], v15 offset1:16
	ds_read2_b64 v[4:7], v15 offset0:32 offset1:48
	s_waitcnt lgkmcnt(1)
	global_store_dwordx4 v14, v[0:3], s[2:3]
	s_waitcnt lgkmcnt(0)
	global_store_dwordx4 v14, v[4:7], s[2:3] offset:16
	s_endpgm
	.section	.rodata,"a",@progbits
	.p2align	6, 0x0
	.amdhsa_kernel _Z39warp_exchange_scatter_to_striped_kernelILj1024ELj4ELj16EdiEvPT2_S1_PT3_
		.amdhsa_group_segment_fixed_size 32768
		.amdhsa_private_segment_fixed_size 0
		.amdhsa_kernarg_size 24
		.amdhsa_user_sgpr_count 6
		.amdhsa_user_sgpr_private_segment_buffer 1
		.amdhsa_user_sgpr_dispatch_ptr 0
		.amdhsa_user_sgpr_queue_ptr 0
		.amdhsa_user_sgpr_kernarg_segment_ptr 1
		.amdhsa_user_sgpr_dispatch_id 0
		.amdhsa_user_sgpr_flat_scratch_init 0
		.amdhsa_user_sgpr_kernarg_preload_length 0
		.amdhsa_user_sgpr_kernarg_preload_offset 0
		.amdhsa_user_sgpr_private_segment_size 0
		.amdhsa_uses_dynamic_stack 0
		.amdhsa_system_sgpr_private_segment_wavefront_offset 0
		.amdhsa_system_sgpr_workgroup_id_x 1
		.amdhsa_system_sgpr_workgroup_id_y 0
		.amdhsa_system_sgpr_workgroup_id_z 0
		.amdhsa_system_sgpr_workgroup_info 0
		.amdhsa_system_vgpr_workitem_id 0
		.amdhsa_next_free_vgpr 16
		.amdhsa_next_free_sgpr 8
		.amdhsa_accum_offset 16
		.amdhsa_reserve_vcc 0
		.amdhsa_reserve_flat_scratch 0
		.amdhsa_float_round_mode_32 0
		.amdhsa_float_round_mode_16_64 0
		.amdhsa_float_denorm_mode_32 3
		.amdhsa_float_denorm_mode_16_64 3
		.amdhsa_dx10_clamp 1
		.amdhsa_ieee_mode 1
		.amdhsa_fp16_overflow 0
		.amdhsa_tg_split 0
		.amdhsa_exception_fp_ieee_invalid_op 0
		.amdhsa_exception_fp_denorm_src 0
		.amdhsa_exception_fp_ieee_div_zero 0
		.amdhsa_exception_fp_ieee_overflow 0
		.amdhsa_exception_fp_ieee_underflow 0
		.amdhsa_exception_fp_ieee_inexact 0
		.amdhsa_exception_int_div_zero 0
	.end_amdhsa_kernel
	.section	.text._Z39warp_exchange_scatter_to_striped_kernelILj1024ELj4ELj16EdiEvPT2_S1_PT3_,"axG",@progbits,_Z39warp_exchange_scatter_to_striped_kernelILj1024ELj4ELj16EdiEvPT2_S1_PT3_,comdat
.Lfunc_end166:
	.size	_Z39warp_exchange_scatter_to_striped_kernelILj1024ELj4ELj16EdiEvPT2_S1_PT3_, .Lfunc_end166-_Z39warp_exchange_scatter_to_striped_kernelILj1024ELj4ELj16EdiEvPT2_S1_PT3_
                                        ; -- End function
	.section	.AMDGPU.csdata,"",@progbits
; Kernel info:
; codeLenInByte = 208
; NumSgprs: 12
; NumVgprs: 16
; NumAgprs: 0
; TotalNumVgprs: 16
; ScratchSize: 0
; MemoryBound: 1
; FloatMode: 240
; IeeeMode: 1
; LDSByteSize: 32768 bytes/workgroup (compile time only)
; SGPRBlocks: 1
; VGPRBlocks: 1
; NumSGPRsForWavesPerEU: 12
; NumVGPRsForWavesPerEU: 16
; AccumOffset: 16
; Occupancy: 8
; WaveLimiterHint : 1
; COMPUTE_PGM_RSRC2:SCRATCH_EN: 0
; COMPUTE_PGM_RSRC2:USER_SGPR: 6
; COMPUTE_PGM_RSRC2:TRAP_HANDLER: 0
; COMPUTE_PGM_RSRC2:TGID_X_EN: 1
; COMPUTE_PGM_RSRC2:TGID_Y_EN: 0
; COMPUTE_PGM_RSRC2:TGID_Z_EN: 0
; COMPUTE_PGM_RSRC2:TIDIG_COMP_CNT: 0
; COMPUTE_PGM_RSRC3_GFX90A:ACCUM_OFFSET: 3
; COMPUTE_PGM_RSRC3_GFX90A:TG_SPLIT: 0
	.section	.text._Z39warp_exchange_scatter_to_striped_kernelILj1024ELj4ELj8EdiEvPT2_S1_PT3_,"axG",@progbits,_Z39warp_exchange_scatter_to_striped_kernelILj1024ELj4ELj8EdiEvPT2_S1_PT3_,comdat
	.protected	_Z39warp_exchange_scatter_to_striped_kernelILj1024ELj4ELj8EdiEvPT2_S1_PT3_ ; -- Begin function _Z39warp_exchange_scatter_to_striped_kernelILj1024ELj4ELj8EdiEvPT2_S1_PT3_
	.globl	_Z39warp_exchange_scatter_to_striped_kernelILj1024ELj4ELj8EdiEvPT2_S1_PT3_
	.p2align	8
	.type	_Z39warp_exchange_scatter_to_striped_kernelILj1024ELj4ELj8EdiEvPT2_S1_PT3_,@function
_Z39warp_exchange_scatter_to_striped_kernelILj1024ELj4ELj8EdiEvPT2_S1_PT3_: ; @_Z39warp_exchange_scatter_to_striped_kernelILj1024ELj4ELj8EdiEvPT2_S1_PT3_
; %bb.0:
	s_load_dwordx2 s[6:7], s[4:5], 0x10
	s_load_dwordx4 s[0:3], s[4:5], 0x0
	v_lshlrev_b32_e32 v1, 4, v0
	v_lshlrev_b32_e32 v14, 5, v0
	v_mbcnt_lo_u32_b32 v0, -1, 0
	s_waitcnt lgkmcnt(0)
	global_load_dwordx4 v[2:5], v1, s[6:7]
	global_load_dwordx4 v[6:9], v14, s[0:1]
	global_load_dwordx4 v[10:13], v14, s[0:1] offset:16
	v_mbcnt_hi_u32_b32 v0, -1, v0
	v_and_b32_e32 v1, 0x7f00, v14
	v_and_b32_e32 v0, 7, v0
	v_lshl_or_b32 v15, v0, 3, v1
	s_waitcnt vmcnt(2)
	v_lshl_add_u32 v0, v2, 3, v1
	v_lshl_add_u32 v2, v3, 3, v1
	;; [unrolled: 1-line block ×4, first 2 shown]
	s_waitcnt vmcnt(1)
	ds_write_b64 v0, v[6:7]
	ds_write_b64 v2, v[8:9]
	s_waitcnt vmcnt(0)
	ds_write_b64 v3, v[10:11]
	ds_write_b64 v1, v[12:13]
	; wave barrier
	ds_read2_b64 v[0:3], v15 offset1:8
	ds_read2_b64 v[4:7], v15 offset0:16 offset1:24
	s_waitcnt lgkmcnt(1)
	global_store_dwordx4 v14, v[0:3], s[2:3]
	s_waitcnt lgkmcnt(0)
	global_store_dwordx4 v14, v[4:7], s[2:3] offset:16
	s_endpgm
	.section	.rodata,"a",@progbits
	.p2align	6, 0x0
	.amdhsa_kernel _Z39warp_exchange_scatter_to_striped_kernelILj1024ELj4ELj8EdiEvPT2_S1_PT3_
		.amdhsa_group_segment_fixed_size 32768
		.amdhsa_private_segment_fixed_size 0
		.amdhsa_kernarg_size 24
		.amdhsa_user_sgpr_count 6
		.amdhsa_user_sgpr_private_segment_buffer 1
		.amdhsa_user_sgpr_dispatch_ptr 0
		.amdhsa_user_sgpr_queue_ptr 0
		.amdhsa_user_sgpr_kernarg_segment_ptr 1
		.amdhsa_user_sgpr_dispatch_id 0
		.amdhsa_user_sgpr_flat_scratch_init 0
		.amdhsa_user_sgpr_kernarg_preload_length 0
		.amdhsa_user_sgpr_kernarg_preload_offset 0
		.amdhsa_user_sgpr_private_segment_size 0
		.amdhsa_uses_dynamic_stack 0
		.amdhsa_system_sgpr_private_segment_wavefront_offset 0
		.amdhsa_system_sgpr_workgroup_id_x 1
		.amdhsa_system_sgpr_workgroup_id_y 0
		.amdhsa_system_sgpr_workgroup_id_z 0
		.amdhsa_system_sgpr_workgroup_info 0
		.amdhsa_system_vgpr_workitem_id 0
		.amdhsa_next_free_vgpr 16
		.amdhsa_next_free_sgpr 8
		.amdhsa_accum_offset 16
		.amdhsa_reserve_vcc 0
		.amdhsa_reserve_flat_scratch 0
		.amdhsa_float_round_mode_32 0
		.amdhsa_float_round_mode_16_64 0
		.amdhsa_float_denorm_mode_32 3
		.amdhsa_float_denorm_mode_16_64 3
		.amdhsa_dx10_clamp 1
		.amdhsa_ieee_mode 1
		.amdhsa_fp16_overflow 0
		.amdhsa_tg_split 0
		.amdhsa_exception_fp_ieee_invalid_op 0
		.amdhsa_exception_fp_denorm_src 0
		.amdhsa_exception_fp_ieee_div_zero 0
		.amdhsa_exception_fp_ieee_overflow 0
		.amdhsa_exception_fp_ieee_underflow 0
		.amdhsa_exception_fp_ieee_inexact 0
		.amdhsa_exception_int_div_zero 0
	.end_amdhsa_kernel
	.section	.text._Z39warp_exchange_scatter_to_striped_kernelILj1024ELj4ELj8EdiEvPT2_S1_PT3_,"axG",@progbits,_Z39warp_exchange_scatter_to_striped_kernelILj1024ELj4ELj8EdiEvPT2_S1_PT3_,comdat
.Lfunc_end167:
	.size	_Z39warp_exchange_scatter_to_striped_kernelILj1024ELj4ELj8EdiEvPT2_S1_PT3_, .Lfunc_end167-_Z39warp_exchange_scatter_to_striped_kernelILj1024ELj4ELj8EdiEvPT2_S1_PT3_
                                        ; -- End function
	.section	.AMDGPU.csdata,"",@progbits
; Kernel info:
; codeLenInByte = 208
; NumSgprs: 12
; NumVgprs: 16
; NumAgprs: 0
; TotalNumVgprs: 16
; ScratchSize: 0
; MemoryBound: 1
; FloatMode: 240
; IeeeMode: 1
; LDSByteSize: 32768 bytes/workgroup (compile time only)
; SGPRBlocks: 1
; VGPRBlocks: 1
; NumSGPRsForWavesPerEU: 12
; NumVGPRsForWavesPerEU: 16
; AccumOffset: 16
; Occupancy: 8
; WaveLimiterHint : 1
; COMPUTE_PGM_RSRC2:SCRATCH_EN: 0
; COMPUTE_PGM_RSRC2:USER_SGPR: 6
; COMPUTE_PGM_RSRC2:TRAP_HANDLER: 0
; COMPUTE_PGM_RSRC2:TGID_X_EN: 1
; COMPUTE_PGM_RSRC2:TGID_Y_EN: 0
; COMPUTE_PGM_RSRC2:TGID_Z_EN: 0
; COMPUTE_PGM_RSRC2:TIDIG_COMP_CNT: 0
; COMPUTE_PGM_RSRC3_GFX90A:ACCUM_OFFSET: 3
; COMPUTE_PGM_RSRC3_GFX90A:TG_SPLIT: 0
	.section	.text._Z39warp_exchange_scatter_to_striped_kernelILj1024ELj4ELj64EiiEvPT2_S1_PT3_,"axG",@progbits,_Z39warp_exchange_scatter_to_striped_kernelILj1024ELj4ELj64EiiEvPT2_S1_PT3_,comdat
	.protected	_Z39warp_exchange_scatter_to_striped_kernelILj1024ELj4ELj64EiiEvPT2_S1_PT3_ ; -- Begin function _Z39warp_exchange_scatter_to_striped_kernelILj1024ELj4ELj64EiiEvPT2_S1_PT3_
	.globl	_Z39warp_exchange_scatter_to_striped_kernelILj1024ELj4ELj64EiiEvPT2_S1_PT3_
	.p2align	8
	.type	_Z39warp_exchange_scatter_to_striped_kernelILj1024ELj4ELj64EiiEvPT2_S1_PT3_,@function
_Z39warp_exchange_scatter_to_striped_kernelILj1024ELj4ELj64EiiEvPT2_S1_PT3_: ; @_Z39warp_exchange_scatter_to_striped_kernelILj1024ELj4ELj64EiiEvPT2_S1_PT3_
; %bb.0:
	s_load_dwordx2 s[6:7], s[4:5], 0x10
	s_load_dwordx4 s[0:3], s[4:5], 0x0
	v_lshlrev_b32_e32 v8, 4, v0
	v_mbcnt_lo_u32_b32 v9, -1, 0
	v_mbcnt_hi_u32_b32 v9, -1, v9
	v_and_b32_e32 v10, 0x3c00, v8
	s_waitcnt lgkmcnt(0)
	global_load_dwordx4 v[0:3], v8, s[6:7]
	global_load_dwordx4 v[4:7], v8, s[0:1]
	v_lshl_or_b32 v9, v9, 2, v10
	s_waitcnt vmcnt(1)
	v_lshl_add_u32 v0, v0, 2, v10
	v_lshl_add_u32 v1, v1, 2, v10
	;; [unrolled: 1-line block ×4, first 2 shown]
	s_waitcnt vmcnt(0)
	ds_write_b32 v0, v4
	ds_write_b32 v1, v5
	;; [unrolled: 1-line block ×4, first 2 shown]
	; wave barrier
	ds_read2st64_b32 v[0:1], v9 offset1:1
	ds_read2st64_b32 v[2:3], v9 offset0:2 offset1:3
	s_waitcnt lgkmcnt(0)
	global_store_dwordx4 v8, v[0:3], s[2:3]
	s_endpgm
	.section	.rodata,"a",@progbits
	.p2align	6, 0x0
	.amdhsa_kernel _Z39warp_exchange_scatter_to_striped_kernelILj1024ELj4ELj64EiiEvPT2_S1_PT3_
		.amdhsa_group_segment_fixed_size 16384
		.amdhsa_private_segment_fixed_size 0
		.amdhsa_kernarg_size 24
		.amdhsa_user_sgpr_count 6
		.amdhsa_user_sgpr_private_segment_buffer 1
		.amdhsa_user_sgpr_dispatch_ptr 0
		.amdhsa_user_sgpr_queue_ptr 0
		.amdhsa_user_sgpr_kernarg_segment_ptr 1
		.amdhsa_user_sgpr_dispatch_id 0
		.amdhsa_user_sgpr_flat_scratch_init 0
		.amdhsa_user_sgpr_kernarg_preload_length 0
		.amdhsa_user_sgpr_kernarg_preload_offset 0
		.amdhsa_user_sgpr_private_segment_size 0
		.amdhsa_uses_dynamic_stack 0
		.amdhsa_system_sgpr_private_segment_wavefront_offset 0
		.amdhsa_system_sgpr_workgroup_id_x 1
		.amdhsa_system_sgpr_workgroup_id_y 0
		.amdhsa_system_sgpr_workgroup_id_z 0
		.amdhsa_system_sgpr_workgroup_info 0
		.amdhsa_system_vgpr_workitem_id 0
		.amdhsa_next_free_vgpr 11
		.amdhsa_next_free_sgpr 8
		.amdhsa_accum_offset 12
		.amdhsa_reserve_vcc 0
		.amdhsa_reserve_flat_scratch 0
		.amdhsa_float_round_mode_32 0
		.amdhsa_float_round_mode_16_64 0
		.amdhsa_float_denorm_mode_32 3
		.amdhsa_float_denorm_mode_16_64 3
		.amdhsa_dx10_clamp 1
		.amdhsa_ieee_mode 1
		.amdhsa_fp16_overflow 0
		.amdhsa_tg_split 0
		.amdhsa_exception_fp_ieee_invalid_op 0
		.amdhsa_exception_fp_denorm_src 0
		.amdhsa_exception_fp_ieee_div_zero 0
		.amdhsa_exception_fp_ieee_overflow 0
		.amdhsa_exception_fp_ieee_underflow 0
		.amdhsa_exception_fp_ieee_inexact 0
		.amdhsa_exception_int_div_zero 0
	.end_amdhsa_kernel
	.section	.text._Z39warp_exchange_scatter_to_striped_kernelILj1024ELj4ELj64EiiEvPT2_S1_PT3_,"axG",@progbits,_Z39warp_exchange_scatter_to_striped_kernelILj1024ELj4ELj64EiiEvPT2_S1_PT3_,comdat
.Lfunc_end168:
	.size	_Z39warp_exchange_scatter_to_striped_kernelILj1024ELj4ELj64EiiEvPT2_S1_PT3_, .Lfunc_end168-_Z39warp_exchange_scatter_to_striped_kernelILj1024ELj4ELj64EiiEvPT2_S1_PT3_
                                        ; -- End function
	.section	.AMDGPU.csdata,"",@progbits
; Kernel info:
; codeLenInByte = 176
; NumSgprs: 12
; NumVgprs: 11
; NumAgprs: 0
; TotalNumVgprs: 11
; ScratchSize: 0
; MemoryBound: 0
; FloatMode: 240
; IeeeMode: 1
; LDSByteSize: 16384 bytes/workgroup (compile time only)
; SGPRBlocks: 1
; VGPRBlocks: 1
; NumSGPRsForWavesPerEU: 12
; NumVGPRsForWavesPerEU: 11
; AccumOffset: 12
; Occupancy: 8
; WaveLimiterHint : 0
; COMPUTE_PGM_RSRC2:SCRATCH_EN: 0
; COMPUTE_PGM_RSRC2:USER_SGPR: 6
; COMPUTE_PGM_RSRC2:TRAP_HANDLER: 0
; COMPUTE_PGM_RSRC2:TGID_X_EN: 1
; COMPUTE_PGM_RSRC2:TGID_Y_EN: 0
; COMPUTE_PGM_RSRC2:TGID_Z_EN: 0
; COMPUTE_PGM_RSRC2:TIDIG_COMP_CNT: 0
; COMPUTE_PGM_RSRC3_GFX90A:ACCUM_OFFSET: 2
; COMPUTE_PGM_RSRC3_GFX90A:TG_SPLIT: 0
	.section	.text._Z39warp_exchange_scatter_to_striped_kernelILj1024ELj4ELj32EiiEvPT2_S1_PT3_,"axG",@progbits,_Z39warp_exchange_scatter_to_striped_kernelILj1024ELj4ELj32EiiEvPT2_S1_PT3_,comdat
	.protected	_Z39warp_exchange_scatter_to_striped_kernelILj1024ELj4ELj32EiiEvPT2_S1_PT3_ ; -- Begin function _Z39warp_exchange_scatter_to_striped_kernelILj1024ELj4ELj32EiiEvPT2_S1_PT3_
	.globl	_Z39warp_exchange_scatter_to_striped_kernelILj1024ELj4ELj32EiiEvPT2_S1_PT3_
	.p2align	8
	.type	_Z39warp_exchange_scatter_to_striped_kernelILj1024ELj4ELj32EiiEvPT2_S1_PT3_,@function
_Z39warp_exchange_scatter_to_striped_kernelILj1024ELj4ELj32EiiEvPT2_S1_PT3_: ; @_Z39warp_exchange_scatter_to_striped_kernelILj1024ELj4ELj32EiiEvPT2_S1_PT3_
; %bb.0:
	s_load_dwordx2 s[6:7], s[4:5], 0x10
	s_load_dwordx4 s[0:3], s[4:5], 0x0
	v_lshlrev_b32_e32 v8, 4, v0
	v_mbcnt_lo_u32_b32 v9, -1, 0
	v_mbcnt_hi_u32_b32 v9, -1, v9
	v_and_b32_e32 v10, 0x3e00, v8
	s_waitcnt lgkmcnt(0)
	global_load_dwordx4 v[0:3], v8, s[6:7]
	global_load_dwordx4 v[4:7], v8, s[0:1]
	v_and_b32_e32 v9, 31, v9
	v_lshl_or_b32 v9, v9, 2, v10
	s_waitcnt vmcnt(1)
	v_lshl_add_u32 v0, v0, 2, v10
	v_lshl_add_u32 v1, v1, 2, v10
	;; [unrolled: 1-line block ×4, first 2 shown]
	s_waitcnt vmcnt(0)
	ds_write_b32 v0, v4
	ds_write_b32 v1, v5
	;; [unrolled: 1-line block ×4, first 2 shown]
	; wave barrier
	ds_read2_b32 v[0:1], v9 offset1:32
	ds_read2_b32 v[2:3], v9 offset0:64 offset1:96
	s_waitcnt lgkmcnt(0)
	global_store_dwordx4 v8, v[0:3], s[2:3]
	s_endpgm
	.section	.rodata,"a",@progbits
	.p2align	6, 0x0
	.amdhsa_kernel _Z39warp_exchange_scatter_to_striped_kernelILj1024ELj4ELj32EiiEvPT2_S1_PT3_
		.amdhsa_group_segment_fixed_size 16384
		.amdhsa_private_segment_fixed_size 0
		.amdhsa_kernarg_size 24
		.amdhsa_user_sgpr_count 6
		.amdhsa_user_sgpr_private_segment_buffer 1
		.amdhsa_user_sgpr_dispatch_ptr 0
		.amdhsa_user_sgpr_queue_ptr 0
		.amdhsa_user_sgpr_kernarg_segment_ptr 1
		.amdhsa_user_sgpr_dispatch_id 0
		.amdhsa_user_sgpr_flat_scratch_init 0
		.amdhsa_user_sgpr_kernarg_preload_length 0
		.amdhsa_user_sgpr_kernarg_preload_offset 0
		.amdhsa_user_sgpr_private_segment_size 0
		.amdhsa_uses_dynamic_stack 0
		.amdhsa_system_sgpr_private_segment_wavefront_offset 0
		.amdhsa_system_sgpr_workgroup_id_x 1
		.amdhsa_system_sgpr_workgroup_id_y 0
		.amdhsa_system_sgpr_workgroup_id_z 0
		.amdhsa_system_sgpr_workgroup_info 0
		.amdhsa_system_vgpr_workitem_id 0
		.amdhsa_next_free_vgpr 11
		.amdhsa_next_free_sgpr 8
		.amdhsa_accum_offset 12
		.amdhsa_reserve_vcc 0
		.amdhsa_reserve_flat_scratch 0
		.amdhsa_float_round_mode_32 0
		.amdhsa_float_round_mode_16_64 0
		.amdhsa_float_denorm_mode_32 3
		.amdhsa_float_denorm_mode_16_64 3
		.amdhsa_dx10_clamp 1
		.amdhsa_ieee_mode 1
		.amdhsa_fp16_overflow 0
		.amdhsa_tg_split 0
		.amdhsa_exception_fp_ieee_invalid_op 0
		.amdhsa_exception_fp_denorm_src 0
		.amdhsa_exception_fp_ieee_div_zero 0
		.amdhsa_exception_fp_ieee_overflow 0
		.amdhsa_exception_fp_ieee_underflow 0
		.amdhsa_exception_fp_ieee_inexact 0
		.amdhsa_exception_int_div_zero 0
	.end_amdhsa_kernel
	.section	.text._Z39warp_exchange_scatter_to_striped_kernelILj1024ELj4ELj32EiiEvPT2_S1_PT3_,"axG",@progbits,_Z39warp_exchange_scatter_to_striped_kernelILj1024ELj4ELj32EiiEvPT2_S1_PT3_,comdat
.Lfunc_end169:
	.size	_Z39warp_exchange_scatter_to_striped_kernelILj1024ELj4ELj32EiiEvPT2_S1_PT3_, .Lfunc_end169-_Z39warp_exchange_scatter_to_striped_kernelILj1024ELj4ELj32EiiEvPT2_S1_PT3_
                                        ; -- End function
	.section	.AMDGPU.csdata,"",@progbits
; Kernel info:
; codeLenInByte = 180
; NumSgprs: 12
; NumVgprs: 11
; NumAgprs: 0
; TotalNumVgprs: 11
; ScratchSize: 0
; MemoryBound: 0
; FloatMode: 240
; IeeeMode: 1
; LDSByteSize: 16384 bytes/workgroup (compile time only)
; SGPRBlocks: 1
; VGPRBlocks: 1
; NumSGPRsForWavesPerEU: 12
; NumVGPRsForWavesPerEU: 11
; AccumOffset: 12
; Occupancy: 8
; WaveLimiterHint : 0
; COMPUTE_PGM_RSRC2:SCRATCH_EN: 0
; COMPUTE_PGM_RSRC2:USER_SGPR: 6
; COMPUTE_PGM_RSRC2:TRAP_HANDLER: 0
; COMPUTE_PGM_RSRC2:TGID_X_EN: 1
; COMPUTE_PGM_RSRC2:TGID_Y_EN: 0
; COMPUTE_PGM_RSRC2:TGID_Z_EN: 0
; COMPUTE_PGM_RSRC2:TIDIG_COMP_CNT: 0
; COMPUTE_PGM_RSRC3_GFX90A:ACCUM_OFFSET: 2
; COMPUTE_PGM_RSRC3_GFX90A:TG_SPLIT: 0
	.section	.text._Z39warp_exchange_scatter_to_striped_kernelILj1024ELj4ELj16EiiEvPT2_S1_PT3_,"axG",@progbits,_Z39warp_exchange_scatter_to_striped_kernelILj1024ELj4ELj16EiiEvPT2_S1_PT3_,comdat
	.protected	_Z39warp_exchange_scatter_to_striped_kernelILj1024ELj4ELj16EiiEvPT2_S1_PT3_ ; -- Begin function _Z39warp_exchange_scatter_to_striped_kernelILj1024ELj4ELj16EiiEvPT2_S1_PT3_
	.globl	_Z39warp_exchange_scatter_to_striped_kernelILj1024ELj4ELj16EiiEvPT2_S1_PT3_
	.p2align	8
	.type	_Z39warp_exchange_scatter_to_striped_kernelILj1024ELj4ELj16EiiEvPT2_S1_PT3_,@function
_Z39warp_exchange_scatter_to_striped_kernelILj1024ELj4ELj16EiiEvPT2_S1_PT3_: ; @_Z39warp_exchange_scatter_to_striped_kernelILj1024ELj4ELj16EiiEvPT2_S1_PT3_
; %bb.0:
	s_load_dwordx2 s[6:7], s[4:5], 0x10
	s_load_dwordx4 s[0:3], s[4:5], 0x0
	v_lshlrev_b32_e32 v8, 4, v0
	v_mbcnt_lo_u32_b32 v9, -1, 0
	v_mbcnt_hi_u32_b32 v9, -1, v9
	v_and_b32_e32 v10, 0x3f00, v8
	s_waitcnt lgkmcnt(0)
	global_load_dwordx4 v[0:3], v8, s[6:7]
	global_load_dwordx4 v[4:7], v8, s[0:1]
	v_and_b32_e32 v9, 15, v9
	v_lshl_or_b32 v9, v9, 2, v10
	s_waitcnt vmcnt(1)
	v_lshl_add_u32 v0, v0, 2, v10
	v_lshl_add_u32 v1, v1, 2, v10
	;; [unrolled: 1-line block ×4, first 2 shown]
	s_waitcnt vmcnt(0)
	ds_write_b32 v0, v4
	ds_write_b32 v1, v5
	;; [unrolled: 1-line block ×4, first 2 shown]
	; wave barrier
	ds_read2_b32 v[0:1], v9 offset1:16
	ds_read2_b32 v[2:3], v9 offset0:32 offset1:48
	s_waitcnt lgkmcnt(0)
	global_store_dwordx4 v8, v[0:3], s[2:3]
	s_endpgm
	.section	.rodata,"a",@progbits
	.p2align	6, 0x0
	.amdhsa_kernel _Z39warp_exchange_scatter_to_striped_kernelILj1024ELj4ELj16EiiEvPT2_S1_PT3_
		.amdhsa_group_segment_fixed_size 16384
		.amdhsa_private_segment_fixed_size 0
		.amdhsa_kernarg_size 24
		.amdhsa_user_sgpr_count 6
		.amdhsa_user_sgpr_private_segment_buffer 1
		.amdhsa_user_sgpr_dispatch_ptr 0
		.amdhsa_user_sgpr_queue_ptr 0
		.amdhsa_user_sgpr_kernarg_segment_ptr 1
		.amdhsa_user_sgpr_dispatch_id 0
		.amdhsa_user_sgpr_flat_scratch_init 0
		.amdhsa_user_sgpr_kernarg_preload_length 0
		.amdhsa_user_sgpr_kernarg_preload_offset 0
		.amdhsa_user_sgpr_private_segment_size 0
		.amdhsa_uses_dynamic_stack 0
		.amdhsa_system_sgpr_private_segment_wavefront_offset 0
		.amdhsa_system_sgpr_workgroup_id_x 1
		.amdhsa_system_sgpr_workgroup_id_y 0
		.amdhsa_system_sgpr_workgroup_id_z 0
		.amdhsa_system_sgpr_workgroup_info 0
		.amdhsa_system_vgpr_workitem_id 0
		.amdhsa_next_free_vgpr 11
		.amdhsa_next_free_sgpr 8
		.amdhsa_accum_offset 12
		.amdhsa_reserve_vcc 0
		.amdhsa_reserve_flat_scratch 0
		.amdhsa_float_round_mode_32 0
		.amdhsa_float_round_mode_16_64 0
		.amdhsa_float_denorm_mode_32 3
		.amdhsa_float_denorm_mode_16_64 3
		.amdhsa_dx10_clamp 1
		.amdhsa_ieee_mode 1
		.amdhsa_fp16_overflow 0
		.amdhsa_tg_split 0
		.amdhsa_exception_fp_ieee_invalid_op 0
		.amdhsa_exception_fp_denorm_src 0
		.amdhsa_exception_fp_ieee_div_zero 0
		.amdhsa_exception_fp_ieee_overflow 0
		.amdhsa_exception_fp_ieee_underflow 0
		.amdhsa_exception_fp_ieee_inexact 0
		.amdhsa_exception_int_div_zero 0
	.end_amdhsa_kernel
	.section	.text._Z39warp_exchange_scatter_to_striped_kernelILj1024ELj4ELj16EiiEvPT2_S1_PT3_,"axG",@progbits,_Z39warp_exchange_scatter_to_striped_kernelILj1024ELj4ELj16EiiEvPT2_S1_PT3_,comdat
.Lfunc_end170:
	.size	_Z39warp_exchange_scatter_to_striped_kernelILj1024ELj4ELj16EiiEvPT2_S1_PT3_, .Lfunc_end170-_Z39warp_exchange_scatter_to_striped_kernelILj1024ELj4ELj16EiiEvPT2_S1_PT3_
                                        ; -- End function
	.section	.AMDGPU.csdata,"",@progbits
; Kernel info:
; codeLenInByte = 180
; NumSgprs: 12
; NumVgprs: 11
; NumAgprs: 0
; TotalNumVgprs: 11
; ScratchSize: 0
; MemoryBound: 0
; FloatMode: 240
; IeeeMode: 1
; LDSByteSize: 16384 bytes/workgroup (compile time only)
; SGPRBlocks: 1
; VGPRBlocks: 1
; NumSGPRsForWavesPerEU: 12
; NumVGPRsForWavesPerEU: 11
; AccumOffset: 12
; Occupancy: 8
; WaveLimiterHint : 0
; COMPUTE_PGM_RSRC2:SCRATCH_EN: 0
; COMPUTE_PGM_RSRC2:USER_SGPR: 6
; COMPUTE_PGM_RSRC2:TRAP_HANDLER: 0
; COMPUTE_PGM_RSRC2:TGID_X_EN: 1
; COMPUTE_PGM_RSRC2:TGID_Y_EN: 0
; COMPUTE_PGM_RSRC2:TGID_Z_EN: 0
; COMPUTE_PGM_RSRC2:TIDIG_COMP_CNT: 0
; COMPUTE_PGM_RSRC3_GFX90A:ACCUM_OFFSET: 2
; COMPUTE_PGM_RSRC3_GFX90A:TG_SPLIT: 0
	.section	.text._Z39warp_exchange_scatter_to_striped_kernelILj1024ELj4ELj8EiiEvPT2_S1_PT3_,"axG",@progbits,_Z39warp_exchange_scatter_to_striped_kernelILj1024ELj4ELj8EiiEvPT2_S1_PT3_,comdat
	.protected	_Z39warp_exchange_scatter_to_striped_kernelILj1024ELj4ELj8EiiEvPT2_S1_PT3_ ; -- Begin function _Z39warp_exchange_scatter_to_striped_kernelILj1024ELj4ELj8EiiEvPT2_S1_PT3_
	.globl	_Z39warp_exchange_scatter_to_striped_kernelILj1024ELj4ELj8EiiEvPT2_S1_PT3_
	.p2align	8
	.type	_Z39warp_exchange_scatter_to_striped_kernelILj1024ELj4ELj8EiiEvPT2_S1_PT3_,@function
_Z39warp_exchange_scatter_to_striped_kernelILj1024ELj4ELj8EiiEvPT2_S1_PT3_: ; @_Z39warp_exchange_scatter_to_striped_kernelILj1024ELj4ELj8EiiEvPT2_S1_PT3_
; %bb.0:
	s_load_dwordx2 s[6:7], s[4:5], 0x10
	s_load_dwordx4 s[0:3], s[4:5], 0x0
	v_lshlrev_b32_e32 v8, 4, v0
	v_mbcnt_lo_u32_b32 v9, -1, 0
	v_mbcnt_hi_u32_b32 v9, -1, v9
	v_and_b32_e32 v10, 0x3f80, v8
	s_waitcnt lgkmcnt(0)
	global_load_dwordx4 v[0:3], v8, s[6:7]
	global_load_dwordx4 v[4:7], v8, s[0:1]
	v_and_b32_e32 v9, 7, v9
	v_lshl_or_b32 v9, v9, 2, v10
	s_waitcnt vmcnt(1)
	v_lshl_add_u32 v0, v0, 2, v10
	v_lshl_add_u32 v1, v1, 2, v10
	;; [unrolled: 1-line block ×4, first 2 shown]
	s_waitcnt vmcnt(0)
	ds_write_b32 v0, v4
	ds_write_b32 v1, v5
	;; [unrolled: 1-line block ×4, first 2 shown]
	; wave barrier
	ds_read2_b32 v[0:1], v9 offset1:8
	ds_read2_b32 v[2:3], v9 offset0:16 offset1:24
	s_waitcnt lgkmcnt(0)
	global_store_dwordx4 v8, v[0:3], s[2:3]
	s_endpgm
	.section	.rodata,"a",@progbits
	.p2align	6, 0x0
	.amdhsa_kernel _Z39warp_exchange_scatter_to_striped_kernelILj1024ELj4ELj8EiiEvPT2_S1_PT3_
		.amdhsa_group_segment_fixed_size 16384
		.amdhsa_private_segment_fixed_size 0
		.amdhsa_kernarg_size 24
		.amdhsa_user_sgpr_count 6
		.amdhsa_user_sgpr_private_segment_buffer 1
		.amdhsa_user_sgpr_dispatch_ptr 0
		.amdhsa_user_sgpr_queue_ptr 0
		.amdhsa_user_sgpr_kernarg_segment_ptr 1
		.amdhsa_user_sgpr_dispatch_id 0
		.amdhsa_user_sgpr_flat_scratch_init 0
		.amdhsa_user_sgpr_kernarg_preload_length 0
		.amdhsa_user_sgpr_kernarg_preload_offset 0
		.amdhsa_user_sgpr_private_segment_size 0
		.amdhsa_uses_dynamic_stack 0
		.amdhsa_system_sgpr_private_segment_wavefront_offset 0
		.amdhsa_system_sgpr_workgroup_id_x 1
		.amdhsa_system_sgpr_workgroup_id_y 0
		.amdhsa_system_sgpr_workgroup_id_z 0
		.amdhsa_system_sgpr_workgroup_info 0
		.amdhsa_system_vgpr_workitem_id 0
		.amdhsa_next_free_vgpr 11
		.amdhsa_next_free_sgpr 8
		.amdhsa_accum_offset 12
		.amdhsa_reserve_vcc 0
		.amdhsa_reserve_flat_scratch 0
		.amdhsa_float_round_mode_32 0
		.amdhsa_float_round_mode_16_64 0
		.amdhsa_float_denorm_mode_32 3
		.amdhsa_float_denorm_mode_16_64 3
		.amdhsa_dx10_clamp 1
		.amdhsa_ieee_mode 1
		.amdhsa_fp16_overflow 0
		.amdhsa_tg_split 0
		.amdhsa_exception_fp_ieee_invalid_op 0
		.amdhsa_exception_fp_denorm_src 0
		.amdhsa_exception_fp_ieee_div_zero 0
		.amdhsa_exception_fp_ieee_overflow 0
		.amdhsa_exception_fp_ieee_underflow 0
		.amdhsa_exception_fp_ieee_inexact 0
		.amdhsa_exception_int_div_zero 0
	.end_amdhsa_kernel
	.section	.text._Z39warp_exchange_scatter_to_striped_kernelILj1024ELj4ELj8EiiEvPT2_S1_PT3_,"axG",@progbits,_Z39warp_exchange_scatter_to_striped_kernelILj1024ELj4ELj8EiiEvPT2_S1_PT3_,comdat
.Lfunc_end171:
	.size	_Z39warp_exchange_scatter_to_striped_kernelILj1024ELj4ELj8EiiEvPT2_S1_PT3_, .Lfunc_end171-_Z39warp_exchange_scatter_to_striped_kernelILj1024ELj4ELj8EiiEvPT2_S1_PT3_
                                        ; -- End function
	.section	.AMDGPU.csdata,"",@progbits
; Kernel info:
; codeLenInByte = 180
; NumSgprs: 12
; NumVgprs: 11
; NumAgprs: 0
; TotalNumVgprs: 11
; ScratchSize: 0
; MemoryBound: 0
; FloatMode: 240
; IeeeMode: 1
; LDSByteSize: 16384 bytes/workgroup (compile time only)
; SGPRBlocks: 1
; VGPRBlocks: 1
; NumSGPRsForWavesPerEU: 12
; NumVGPRsForWavesPerEU: 11
; AccumOffset: 12
; Occupancy: 8
; WaveLimiterHint : 0
; COMPUTE_PGM_RSRC2:SCRATCH_EN: 0
; COMPUTE_PGM_RSRC2:USER_SGPR: 6
; COMPUTE_PGM_RSRC2:TRAP_HANDLER: 0
; COMPUTE_PGM_RSRC2:TGID_X_EN: 1
; COMPUTE_PGM_RSRC2:TGID_Y_EN: 0
; COMPUTE_PGM_RSRC2:TGID_Z_EN: 0
; COMPUTE_PGM_RSRC2:TIDIG_COMP_CNT: 0
; COMPUTE_PGM_RSRC3_GFX90A:ACCUM_OFFSET: 2
; COMPUTE_PGM_RSRC3_GFX90A:TG_SPLIT: 0
	.section	.text._Z39warp_exchange_scatter_to_striped_kernelILj1024ELj4ELj64EciEvPT2_S1_PT3_,"axG",@progbits,_Z39warp_exchange_scatter_to_striped_kernelILj1024ELj4ELj64EciEvPT2_S1_PT3_,comdat
	.protected	_Z39warp_exchange_scatter_to_striped_kernelILj1024ELj4ELj64EciEvPT2_S1_PT3_ ; -- Begin function _Z39warp_exchange_scatter_to_striped_kernelILj1024ELj4ELj64EciEvPT2_S1_PT3_
	.globl	_Z39warp_exchange_scatter_to_striped_kernelILj1024ELj4ELj64EciEvPT2_S1_PT3_
	.p2align	8
	.type	_Z39warp_exchange_scatter_to_striped_kernelILj1024ELj4ELj64EciEvPT2_S1_PT3_,@function
_Z39warp_exchange_scatter_to_striped_kernelILj1024ELj4ELj64EciEvPT2_S1_PT3_: ; @_Z39warp_exchange_scatter_to_striped_kernelILj1024ELj4ELj64EciEvPT2_S1_PT3_
; %bb.0:
	s_load_dwordx4 s[0:3], s[4:5], 0x0
	s_load_dwordx2 s[6:7], s[4:5], 0x10
	v_lshlrev_b32_e32 v4, 2, v0
	v_lshlrev_b32_e32 v0, 4, v0
	v_mbcnt_lo_u32_b32 v6, -1, 0
	s_waitcnt lgkmcnt(0)
	global_load_dword v5, v4, s[0:1]
	v_mbcnt_hi_u32_b32 v6, -1, v6
	global_load_dwordx4 v[0:3], v0, s[6:7]
	v_and_b32_e32 v7, 0xf00, v4
	v_or_b32_e32 v6, v7, v6
	s_waitcnt vmcnt(1)
	v_lshrrev_b32_e32 v8, 8, v5
	v_lshrrev_b32_e32 v9, 24, v5
	s_waitcnt vmcnt(0)
	v_add_u32_e32 v0, v7, v0
	v_add_u32_e32 v1, v7, v1
	;; [unrolled: 1-line block ×4, first 2 shown]
	ds_write_b8 v0, v5
	ds_write_b8 v1, v8
	ds_write_b8_d16_hi v2, v5
	ds_write_b8 v3, v9
	; wave barrier
	ds_read_u8 v0, v6 offset:64
	ds_read_u8 v1, v6 offset:192
	ds_read_u8 v2, v6
	ds_read_u8 v3, v6 offset:128
	s_waitcnt lgkmcnt(3)
	v_lshlrev_b16_e32 v0, 8, v0
	s_waitcnt lgkmcnt(2)
	v_lshlrev_b16_e32 v1, 8, v1
	s_waitcnt lgkmcnt(1)
	v_or_b32_e32 v0, v2, v0
	s_waitcnt lgkmcnt(0)
	v_or_b32_sdwa v1, v3, v1 dst_sel:WORD_1 dst_unused:UNUSED_PAD src0_sel:DWORD src1_sel:DWORD
	v_or_b32_sdwa v0, v0, v1 dst_sel:DWORD dst_unused:UNUSED_PAD src0_sel:WORD_0 src1_sel:DWORD
	global_store_dword v4, v0, s[2:3]
	s_endpgm
	.section	.rodata,"a",@progbits
	.p2align	6, 0x0
	.amdhsa_kernel _Z39warp_exchange_scatter_to_striped_kernelILj1024ELj4ELj64EciEvPT2_S1_PT3_
		.amdhsa_group_segment_fixed_size 4096
		.amdhsa_private_segment_fixed_size 0
		.amdhsa_kernarg_size 24
		.amdhsa_user_sgpr_count 6
		.amdhsa_user_sgpr_private_segment_buffer 1
		.amdhsa_user_sgpr_dispatch_ptr 0
		.amdhsa_user_sgpr_queue_ptr 0
		.amdhsa_user_sgpr_kernarg_segment_ptr 1
		.amdhsa_user_sgpr_dispatch_id 0
		.amdhsa_user_sgpr_flat_scratch_init 0
		.amdhsa_user_sgpr_kernarg_preload_length 0
		.amdhsa_user_sgpr_kernarg_preload_offset 0
		.amdhsa_user_sgpr_private_segment_size 0
		.amdhsa_uses_dynamic_stack 0
		.amdhsa_system_sgpr_private_segment_wavefront_offset 0
		.amdhsa_system_sgpr_workgroup_id_x 1
		.amdhsa_system_sgpr_workgroup_id_y 0
		.amdhsa_system_sgpr_workgroup_id_z 0
		.amdhsa_system_sgpr_workgroup_info 0
		.amdhsa_system_vgpr_workitem_id 0
		.amdhsa_next_free_vgpr 10
		.amdhsa_next_free_sgpr 8
		.amdhsa_accum_offset 12
		.amdhsa_reserve_vcc 0
		.amdhsa_reserve_flat_scratch 0
		.amdhsa_float_round_mode_32 0
		.amdhsa_float_round_mode_16_64 0
		.amdhsa_float_denorm_mode_32 3
		.amdhsa_float_denorm_mode_16_64 3
		.amdhsa_dx10_clamp 1
		.amdhsa_ieee_mode 1
		.amdhsa_fp16_overflow 0
		.amdhsa_tg_split 0
		.amdhsa_exception_fp_ieee_invalid_op 0
		.amdhsa_exception_fp_denorm_src 0
		.amdhsa_exception_fp_ieee_div_zero 0
		.amdhsa_exception_fp_ieee_overflow 0
		.amdhsa_exception_fp_ieee_underflow 0
		.amdhsa_exception_fp_ieee_inexact 0
		.amdhsa_exception_int_div_zero 0
	.end_amdhsa_kernel
	.section	.text._Z39warp_exchange_scatter_to_striped_kernelILj1024ELj4ELj64EciEvPT2_S1_PT3_,"axG",@progbits,_Z39warp_exchange_scatter_to_striped_kernelILj1024ELj4ELj64EciEvPT2_S1_PT3_,comdat
.Lfunc_end172:
	.size	_Z39warp_exchange_scatter_to_striped_kernelILj1024ELj4ELj64EciEvPT2_S1_PT3_, .Lfunc_end172-_Z39warp_exchange_scatter_to_striped_kernelILj1024ELj4ELj64EciEvPT2_S1_PT3_
                                        ; -- End function
	.section	.AMDGPU.csdata,"",@progbits
; Kernel info:
; codeLenInByte = 224
; NumSgprs: 12
; NumVgprs: 10
; NumAgprs: 0
; TotalNumVgprs: 10
; ScratchSize: 0
; MemoryBound: 0
; FloatMode: 240
; IeeeMode: 1
; LDSByteSize: 4096 bytes/workgroup (compile time only)
; SGPRBlocks: 1
; VGPRBlocks: 1
; NumSGPRsForWavesPerEU: 12
; NumVGPRsForWavesPerEU: 10
; AccumOffset: 12
; Occupancy: 8
; WaveLimiterHint : 0
; COMPUTE_PGM_RSRC2:SCRATCH_EN: 0
; COMPUTE_PGM_RSRC2:USER_SGPR: 6
; COMPUTE_PGM_RSRC2:TRAP_HANDLER: 0
; COMPUTE_PGM_RSRC2:TGID_X_EN: 1
; COMPUTE_PGM_RSRC2:TGID_Y_EN: 0
; COMPUTE_PGM_RSRC2:TGID_Z_EN: 0
; COMPUTE_PGM_RSRC2:TIDIG_COMP_CNT: 0
; COMPUTE_PGM_RSRC3_GFX90A:ACCUM_OFFSET: 2
; COMPUTE_PGM_RSRC3_GFX90A:TG_SPLIT: 0
	.section	.text._Z39warp_exchange_scatter_to_striped_kernelILj1024ELj4ELj32EciEvPT2_S1_PT3_,"axG",@progbits,_Z39warp_exchange_scatter_to_striped_kernelILj1024ELj4ELj32EciEvPT2_S1_PT3_,comdat
	.protected	_Z39warp_exchange_scatter_to_striped_kernelILj1024ELj4ELj32EciEvPT2_S1_PT3_ ; -- Begin function _Z39warp_exchange_scatter_to_striped_kernelILj1024ELj4ELj32EciEvPT2_S1_PT3_
	.globl	_Z39warp_exchange_scatter_to_striped_kernelILj1024ELj4ELj32EciEvPT2_S1_PT3_
	.p2align	8
	.type	_Z39warp_exchange_scatter_to_striped_kernelILj1024ELj4ELj32EciEvPT2_S1_PT3_,@function
_Z39warp_exchange_scatter_to_striped_kernelILj1024ELj4ELj32EciEvPT2_S1_PT3_: ; @_Z39warp_exchange_scatter_to_striped_kernelILj1024ELj4ELj32EciEvPT2_S1_PT3_
; %bb.0:
	s_load_dwordx4 s[0:3], s[4:5], 0x0
	s_load_dwordx2 s[6:7], s[4:5], 0x10
	v_lshlrev_b32_e32 v4, 2, v0
	v_lshlrev_b32_e32 v0, 4, v0
	v_mbcnt_lo_u32_b32 v6, -1, 0
	s_waitcnt lgkmcnt(0)
	global_load_dword v5, v4, s[0:1]
	v_mbcnt_hi_u32_b32 v6, -1, v6
	global_load_dwordx4 v[0:3], v0, s[6:7]
	v_and_b32_e32 v7, 0xf80, v4
	v_and_or_b32 v6, v6, 31, v7
	s_waitcnt vmcnt(1)
	v_lshrrev_b32_e32 v8, 8, v5
	v_lshrrev_b32_e32 v9, 24, v5
	s_waitcnt vmcnt(0)
	v_add_u32_e32 v0, v7, v0
	v_add_u32_e32 v1, v7, v1
	v_add_u32_e32 v2, v7, v2
	v_add_u32_e32 v3, v7, v3
	ds_write_b8 v0, v5
	ds_write_b8 v1, v8
	ds_write_b8_d16_hi v2, v5
	ds_write_b8 v3, v9
	; wave barrier
	ds_read_u8 v0, v6 offset:32
	ds_read_u8 v1, v6 offset:96
	ds_read_u8 v2, v6
	ds_read_u8 v3, v6 offset:64
	s_waitcnt lgkmcnt(3)
	v_lshlrev_b16_e32 v0, 8, v0
	s_waitcnt lgkmcnt(2)
	v_lshlrev_b16_e32 v1, 8, v1
	s_waitcnt lgkmcnt(1)
	v_or_b32_e32 v0, v2, v0
	s_waitcnt lgkmcnt(0)
	v_or_b32_sdwa v1, v3, v1 dst_sel:WORD_1 dst_unused:UNUSED_PAD src0_sel:DWORD src1_sel:DWORD
	v_or_b32_sdwa v0, v0, v1 dst_sel:DWORD dst_unused:UNUSED_PAD src0_sel:WORD_0 src1_sel:DWORD
	global_store_dword v4, v0, s[2:3]
	s_endpgm
	.section	.rodata,"a",@progbits
	.p2align	6, 0x0
	.amdhsa_kernel _Z39warp_exchange_scatter_to_striped_kernelILj1024ELj4ELj32EciEvPT2_S1_PT3_
		.amdhsa_group_segment_fixed_size 4096
		.amdhsa_private_segment_fixed_size 0
		.amdhsa_kernarg_size 24
		.amdhsa_user_sgpr_count 6
		.amdhsa_user_sgpr_private_segment_buffer 1
		.amdhsa_user_sgpr_dispatch_ptr 0
		.amdhsa_user_sgpr_queue_ptr 0
		.amdhsa_user_sgpr_kernarg_segment_ptr 1
		.amdhsa_user_sgpr_dispatch_id 0
		.amdhsa_user_sgpr_flat_scratch_init 0
		.amdhsa_user_sgpr_kernarg_preload_length 0
		.amdhsa_user_sgpr_kernarg_preload_offset 0
		.amdhsa_user_sgpr_private_segment_size 0
		.amdhsa_uses_dynamic_stack 0
		.amdhsa_system_sgpr_private_segment_wavefront_offset 0
		.amdhsa_system_sgpr_workgroup_id_x 1
		.amdhsa_system_sgpr_workgroup_id_y 0
		.amdhsa_system_sgpr_workgroup_id_z 0
		.amdhsa_system_sgpr_workgroup_info 0
		.amdhsa_system_vgpr_workitem_id 0
		.amdhsa_next_free_vgpr 10
		.amdhsa_next_free_sgpr 8
		.amdhsa_accum_offset 12
		.amdhsa_reserve_vcc 0
		.amdhsa_reserve_flat_scratch 0
		.amdhsa_float_round_mode_32 0
		.amdhsa_float_round_mode_16_64 0
		.amdhsa_float_denorm_mode_32 3
		.amdhsa_float_denorm_mode_16_64 3
		.amdhsa_dx10_clamp 1
		.amdhsa_ieee_mode 1
		.amdhsa_fp16_overflow 0
		.amdhsa_tg_split 0
		.amdhsa_exception_fp_ieee_invalid_op 0
		.amdhsa_exception_fp_denorm_src 0
		.amdhsa_exception_fp_ieee_div_zero 0
		.amdhsa_exception_fp_ieee_overflow 0
		.amdhsa_exception_fp_ieee_underflow 0
		.amdhsa_exception_fp_ieee_inexact 0
		.amdhsa_exception_int_div_zero 0
	.end_amdhsa_kernel
	.section	.text._Z39warp_exchange_scatter_to_striped_kernelILj1024ELj4ELj32EciEvPT2_S1_PT3_,"axG",@progbits,_Z39warp_exchange_scatter_to_striped_kernelILj1024ELj4ELj32EciEvPT2_S1_PT3_,comdat
.Lfunc_end173:
	.size	_Z39warp_exchange_scatter_to_striped_kernelILj1024ELj4ELj32EciEvPT2_S1_PT3_, .Lfunc_end173-_Z39warp_exchange_scatter_to_striped_kernelILj1024ELj4ELj32EciEvPT2_S1_PT3_
                                        ; -- End function
	.section	.AMDGPU.csdata,"",@progbits
; Kernel info:
; codeLenInByte = 228
; NumSgprs: 12
; NumVgprs: 10
; NumAgprs: 0
; TotalNumVgprs: 10
; ScratchSize: 0
; MemoryBound: 0
; FloatMode: 240
; IeeeMode: 1
; LDSByteSize: 4096 bytes/workgroup (compile time only)
; SGPRBlocks: 1
; VGPRBlocks: 1
; NumSGPRsForWavesPerEU: 12
; NumVGPRsForWavesPerEU: 10
; AccumOffset: 12
; Occupancy: 8
; WaveLimiterHint : 0
; COMPUTE_PGM_RSRC2:SCRATCH_EN: 0
; COMPUTE_PGM_RSRC2:USER_SGPR: 6
; COMPUTE_PGM_RSRC2:TRAP_HANDLER: 0
; COMPUTE_PGM_RSRC2:TGID_X_EN: 1
; COMPUTE_PGM_RSRC2:TGID_Y_EN: 0
; COMPUTE_PGM_RSRC2:TGID_Z_EN: 0
; COMPUTE_PGM_RSRC2:TIDIG_COMP_CNT: 0
; COMPUTE_PGM_RSRC3_GFX90A:ACCUM_OFFSET: 2
; COMPUTE_PGM_RSRC3_GFX90A:TG_SPLIT: 0
	.section	.text._Z39warp_exchange_scatter_to_striped_kernelILj1024ELj4ELj16EciEvPT2_S1_PT3_,"axG",@progbits,_Z39warp_exchange_scatter_to_striped_kernelILj1024ELj4ELj16EciEvPT2_S1_PT3_,comdat
	.protected	_Z39warp_exchange_scatter_to_striped_kernelILj1024ELj4ELj16EciEvPT2_S1_PT3_ ; -- Begin function _Z39warp_exchange_scatter_to_striped_kernelILj1024ELj4ELj16EciEvPT2_S1_PT3_
	.globl	_Z39warp_exchange_scatter_to_striped_kernelILj1024ELj4ELj16EciEvPT2_S1_PT3_
	.p2align	8
	.type	_Z39warp_exchange_scatter_to_striped_kernelILj1024ELj4ELj16EciEvPT2_S1_PT3_,@function
_Z39warp_exchange_scatter_to_striped_kernelILj1024ELj4ELj16EciEvPT2_S1_PT3_: ; @_Z39warp_exchange_scatter_to_striped_kernelILj1024ELj4ELj16EciEvPT2_S1_PT3_
; %bb.0:
	s_load_dwordx4 s[0:3], s[4:5], 0x0
	s_load_dwordx2 s[6:7], s[4:5], 0x10
	v_lshlrev_b32_e32 v4, 2, v0
	v_lshlrev_b32_e32 v0, 4, v0
	v_mbcnt_lo_u32_b32 v6, -1, 0
	s_waitcnt lgkmcnt(0)
	global_load_dword v5, v4, s[0:1]
	v_mbcnt_hi_u32_b32 v6, -1, v6
	global_load_dwordx4 v[0:3], v0, s[6:7]
	v_and_b32_e32 v7, 0xfc0, v4
	v_and_or_b32 v6, v6, 15, v7
	s_waitcnt vmcnt(1)
	v_lshrrev_b32_e32 v8, 8, v5
	v_lshrrev_b32_e32 v9, 24, v5
	s_waitcnt vmcnt(0)
	v_add_u32_e32 v0, v7, v0
	v_add_u32_e32 v1, v7, v1
	;; [unrolled: 1-line block ×4, first 2 shown]
	ds_write_b8 v0, v5
	ds_write_b8 v1, v8
	ds_write_b8_d16_hi v2, v5
	ds_write_b8 v3, v9
	; wave barrier
	ds_read_u8 v0, v6 offset:16
	ds_read_u8 v1, v6 offset:48
	ds_read_u8 v2, v6
	ds_read_u8 v3, v6 offset:32
	s_waitcnt lgkmcnt(3)
	v_lshlrev_b16_e32 v0, 8, v0
	s_waitcnt lgkmcnt(2)
	v_lshlrev_b16_e32 v1, 8, v1
	s_waitcnt lgkmcnt(1)
	v_or_b32_e32 v0, v2, v0
	s_waitcnt lgkmcnt(0)
	v_or_b32_sdwa v1, v3, v1 dst_sel:WORD_1 dst_unused:UNUSED_PAD src0_sel:DWORD src1_sel:DWORD
	v_or_b32_sdwa v0, v0, v1 dst_sel:DWORD dst_unused:UNUSED_PAD src0_sel:WORD_0 src1_sel:DWORD
	global_store_dword v4, v0, s[2:3]
	s_endpgm
	.section	.rodata,"a",@progbits
	.p2align	6, 0x0
	.amdhsa_kernel _Z39warp_exchange_scatter_to_striped_kernelILj1024ELj4ELj16EciEvPT2_S1_PT3_
		.amdhsa_group_segment_fixed_size 4096
		.amdhsa_private_segment_fixed_size 0
		.amdhsa_kernarg_size 24
		.amdhsa_user_sgpr_count 6
		.amdhsa_user_sgpr_private_segment_buffer 1
		.amdhsa_user_sgpr_dispatch_ptr 0
		.amdhsa_user_sgpr_queue_ptr 0
		.amdhsa_user_sgpr_kernarg_segment_ptr 1
		.amdhsa_user_sgpr_dispatch_id 0
		.amdhsa_user_sgpr_flat_scratch_init 0
		.amdhsa_user_sgpr_kernarg_preload_length 0
		.amdhsa_user_sgpr_kernarg_preload_offset 0
		.amdhsa_user_sgpr_private_segment_size 0
		.amdhsa_uses_dynamic_stack 0
		.amdhsa_system_sgpr_private_segment_wavefront_offset 0
		.amdhsa_system_sgpr_workgroup_id_x 1
		.amdhsa_system_sgpr_workgroup_id_y 0
		.amdhsa_system_sgpr_workgroup_id_z 0
		.amdhsa_system_sgpr_workgroup_info 0
		.amdhsa_system_vgpr_workitem_id 0
		.amdhsa_next_free_vgpr 10
		.amdhsa_next_free_sgpr 8
		.amdhsa_accum_offset 12
		.amdhsa_reserve_vcc 0
		.amdhsa_reserve_flat_scratch 0
		.amdhsa_float_round_mode_32 0
		.amdhsa_float_round_mode_16_64 0
		.amdhsa_float_denorm_mode_32 3
		.amdhsa_float_denorm_mode_16_64 3
		.amdhsa_dx10_clamp 1
		.amdhsa_ieee_mode 1
		.amdhsa_fp16_overflow 0
		.amdhsa_tg_split 0
		.amdhsa_exception_fp_ieee_invalid_op 0
		.amdhsa_exception_fp_denorm_src 0
		.amdhsa_exception_fp_ieee_div_zero 0
		.amdhsa_exception_fp_ieee_overflow 0
		.amdhsa_exception_fp_ieee_underflow 0
		.amdhsa_exception_fp_ieee_inexact 0
		.amdhsa_exception_int_div_zero 0
	.end_amdhsa_kernel
	.section	.text._Z39warp_exchange_scatter_to_striped_kernelILj1024ELj4ELj16EciEvPT2_S1_PT3_,"axG",@progbits,_Z39warp_exchange_scatter_to_striped_kernelILj1024ELj4ELj16EciEvPT2_S1_PT3_,comdat
.Lfunc_end174:
	.size	_Z39warp_exchange_scatter_to_striped_kernelILj1024ELj4ELj16EciEvPT2_S1_PT3_, .Lfunc_end174-_Z39warp_exchange_scatter_to_striped_kernelILj1024ELj4ELj16EciEvPT2_S1_PT3_
                                        ; -- End function
	.section	.AMDGPU.csdata,"",@progbits
; Kernel info:
; codeLenInByte = 228
; NumSgprs: 12
; NumVgprs: 10
; NumAgprs: 0
; TotalNumVgprs: 10
; ScratchSize: 0
; MemoryBound: 0
; FloatMode: 240
; IeeeMode: 1
; LDSByteSize: 4096 bytes/workgroup (compile time only)
; SGPRBlocks: 1
; VGPRBlocks: 1
; NumSGPRsForWavesPerEU: 12
; NumVGPRsForWavesPerEU: 10
; AccumOffset: 12
; Occupancy: 8
; WaveLimiterHint : 0
; COMPUTE_PGM_RSRC2:SCRATCH_EN: 0
; COMPUTE_PGM_RSRC2:USER_SGPR: 6
; COMPUTE_PGM_RSRC2:TRAP_HANDLER: 0
; COMPUTE_PGM_RSRC2:TGID_X_EN: 1
; COMPUTE_PGM_RSRC2:TGID_Y_EN: 0
; COMPUTE_PGM_RSRC2:TGID_Z_EN: 0
; COMPUTE_PGM_RSRC2:TIDIG_COMP_CNT: 0
; COMPUTE_PGM_RSRC3_GFX90A:ACCUM_OFFSET: 2
; COMPUTE_PGM_RSRC3_GFX90A:TG_SPLIT: 0
	.section	.text._Z39warp_exchange_scatter_to_striped_kernelILj1024ELj4ELj8EciEvPT2_S1_PT3_,"axG",@progbits,_Z39warp_exchange_scatter_to_striped_kernelILj1024ELj4ELj8EciEvPT2_S1_PT3_,comdat
	.protected	_Z39warp_exchange_scatter_to_striped_kernelILj1024ELj4ELj8EciEvPT2_S1_PT3_ ; -- Begin function _Z39warp_exchange_scatter_to_striped_kernelILj1024ELj4ELj8EciEvPT2_S1_PT3_
	.globl	_Z39warp_exchange_scatter_to_striped_kernelILj1024ELj4ELj8EciEvPT2_S1_PT3_
	.p2align	8
	.type	_Z39warp_exchange_scatter_to_striped_kernelILj1024ELj4ELj8EciEvPT2_S1_PT3_,@function
_Z39warp_exchange_scatter_to_striped_kernelILj1024ELj4ELj8EciEvPT2_S1_PT3_: ; @_Z39warp_exchange_scatter_to_striped_kernelILj1024ELj4ELj8EciEvPT2_S1_PT3_
; %bb.0:
	s_load_dwordx4 s[0:3], s[4:5], 0x0
	s_load_dwordx2 s[6:7], s[4:5], 0x10
	v_lshlrev_b32_e32 v4, 2, v0
	v_lshlrev_b32_e32 v0, 4, v0
	v_mbcnt_lo_u32_b32 v6, -1, 0
	s_waitcnt lgkmcnt(0)
	global_load_dword v5, v4, s[0:1]
	v_mbcnt_hi_u32_b32 v6, -1, v6
	global_load_dwordx4 v[0:3], v0, s[6:7]
	v_and_b32_e32 v7, 0xfe0, v4
	v_and_or_b32 v6, v6, 7, v7
	s_waitcnt vmcnt(1)
	v_lshrrev_b32_e32 v8, 8, v5
	v_lshrrev_b32_e32 v9, 24, v5
	s_waitcnt vmcnt(0)
	v_add_u32_e32 v0, v7, v0
	v_add_u32_e32 v1, v7, v1
	;; [unrolled: 1-line block ×4, first 2 shown]
	ds_write_b8 v0, v5
	ds_write_b8 v1, v8
	ds_write_b8_d16_hi v2, v5
	ds_write_b8 v3, v9
	; wave barrier
	ds_read_u8 v0, v6 offset:8
	ds_read_u8 v1, v6 offset:24
	ds_read_u8 v2, v6
	ds_read_u8 v3, v6 offset:16
	s_waitcnt lgkmcnt(3)
	v_lshlrev_b16_e32 v0, 8, v0
	s_waitcnt lgkmcnt(2)
	v_lshlrev_b16_e32 v1, 8, v1
	s_waitcnt lgkmcnt(1)
	v_or_b32_e32 v0, v2, v0
	s_waitcnt lgkmcnt(0)
	v_or_b32_sdwa v1, v3, v1 dst_sel:WORD_1 dst_unused:UNUSED_PAD src0_sel:DWORD src1_sel:DWORD
	v_or_b32_sdwa v0, v0, v1 dst_sel:DWORD dst_unused:UNUSED_PAD src0_sel:WORD_0 src1_sel:DWORD
	global_store_dword v4, v0, s[2:3]
	s_endpgm
	.section	.rodata,"a",@progbits
	.p2align	6, 0x0
	.amdhsa_kernel _Z39warp_exchange_scatter_to_striped_kernelILj1024ELj4ELj8EciEvPT2_S1_PT3_
		.amdhsa_group_segment_fixed_size 4096
		.amdhsa_private_segment_fixed_size 0
		.amdhsa_kernarg_size 24
		.amdhsa_user_sgpr_count 6
		.amdhsa_user_sgpr_private_segment_buffer 1
		.amdhsa_user_sgpr_dispatch_ptr 0
		.amdhsa_user_sgpr_queue_ptr 0
		.amdhsa_user_sgpr_kernarg_segment_ptr 1
		.amdhsa_user_sgpr_dispatch_id 0
		.amdhsa_user_sgpr_flat_scratch_init 0
		.amdhsa_user_sgpr_kernarg_preload_length 0
		.amdhsa_user_sgpr_kernarg_preload_offset 0
		.amdhsa_user_sgpr_private_segment_size 0
		.amdhsa_uses_dynamic_stack 0
		.amdhsa_system_sgpr_private_segment_wavefront_offset 0
		.amdhsa_system_sgpr_workgroup_id_x 1
		.amdhsa_system_sgpr_workgroup_id_y 0
		.amdhsa_system_sgpr_workgroup_id_z 0
		.amdhsa_system_sgpr_workgroup_info 0
		.amdhsa_system_vgpr_workitem_id 0
		.amdhsa_next_free_vgpr 10
		.amdhsa_next_free_sgpr 8
		.amdhsa_accum_offset 12
		.amdhsa_reserve_vcc 0
		.amdhsa_reserve_flat_scratch 0
		.amdhsa_float_round_mode_32 0
		.amdhsa_float_round_mode_16_64 0
		.amdhsa_float_denorm_mode_32 3
		.amdhsa_float_denorm_mode_16_64 3
		.amdhsa_dx10_clamp 1
		.amdhsa_ieee_mode 1
		.amdhsa_fp16_overflow 0
		.amdhsa_tg_split 0
		.amdhsa_exception_fp_ieee_invalid_op 0
		.amdhsa_exception_fp_denorm_src 0
		.amdhsa_exception_fp_ieee_div_zero 0
		.amdhsa_exception_fp_ieee_overflow 0
		.amdhsa_exception_fp_ieee_underflow 0
		.amdhsa_exception_fp_ieee_inexact 0
		.amdhsa_exception_int_div_zero 0
	.end_amdhsa_kernel
	.section	.text._Z39warp_exchange_scatter_to_striped_kernelILj1024ELj4ELj8EciEvPT2_S1_PT3_,"axG",@progbits,_Z39warp_exchange_scatter_to_striped_kernelILj1024ELj4ELj8EciEvPT2_S1_PT3_,comdat
.Lfunc_end175:
	.size	_Z39warp_exchange_scatter_to_striped_kernelILj1024ELj4ELj8EciEvPT2_S1_PT3_, .Lfunc_end175-_Z39warp_exchange_scatter_to_striped_kernelILj1024ELj4ELj8EciEvPT2_S1_PT3_
                                        ; -- End function
	.section	.AMDGPU.csdata,"",@progbits
; Kernel info:
; codeLenInByte = 228
; NumSgprs: 12
; NumVgprs: 10
; NumAgprs: 0
; TotalNumVgprs: 10
; ScratchSize: 0
; MemoryBound: 0
; FloatMode: 240
; IeeeMode: 1
; LDSByteSize: 4096 bytes/workgroup (compile time only)
; SGPRBlocks: 1
; VGPRBlocks: 1
; NumSGPRsForWavesPerEU: 12
; NumVGPRsForWavesPerEU: 10
; AccumOffset: 12
; Occupancy: 8
; WaveLimiterHint : 0
; COMPUTE_PGM_RSRC2:SCRATCH_EN: 0
; COMPUTE_PGM_RSRC2:USER_SGPR: 6
; COMPUTE_PGM_RSRC2:TRAP_HANDLER: 0
; COMPUTE_PGM_RSRC2:TGID_X_EN: 1
; COMPUTE_PGM_RSRC2:TGID_Y_EN: 0
; COMPUTE_PGM_RSRC2:TGID_Z_EN: 0
; COMPUTE_PGM_RSRC2:TIDIG_COMP_CNT: 0
; COMPUTE_PGM_RSRC3_GFX90A:ACCUM_OFFSET: 2
; COMPUTE_PGM_RSRC3_GFX90A:TG_SPLIT: 0
	.text
	.p2alignl 6, 3212836864
	.fill 256, 4, 3212836864
	.type	__hip_cuid_57fd97a8e67ae347,@object ; @__hip_cuid_57fd97a8e67ae347
	.section	.bss,"aw",@nobits
	.globl	__hip_cuid_57fd97a8e67ae347
__hip_cuid_57fd97a8e67ae347:
	.byte	0                               ; 0x0
	.size	__hip_cuid_57fd97a8e67ae347, 1

	.ident	"AMD clang version 19.0.0git (https://github.com/RadeonOpenCompute/llvm-project roc-6.4.0 25133 c7fe45cf4b819c5991fe208aaa96edf142730f1d)"
	.section	".note.GNU-stack","",@progbits
	.addrsig
	.addrsig_sym __hip_cuid_57fd97a8e67ae347
	.amdgpu_metadata
---
amdhsa.kernels:
  - .agpr_count:     0
    .args:
      - .address_space:  global
        .offset:         0
        .size:           8
        .value_kind:     global_buffer
      - .address_space:  global
        .offset:         8
        .size:           8
        .value_kind:     global_buffer
    .group_segment_fixed_size: 10240
    .kernarg_segment_align: 8
    .kernarg_segment_size: 16
    .language:       OpenCL C
    .language_version:
      - 2
      - 0
    .max_flat_workgroup_size: 1024
    .name:           _Z20warp_exchange_kernelILj1024ELj5ELj64ELN6hipcub21WarpExchangeAlgorithmE0E18StripedToBlockedOp6__halfEvPT4_S5_
    .private_segment_fixed_size: 0
    .sgpr_count:     10
    .sgpr_spill_count: 0
    .symbol:         _Z20warp_exchange_kernelILj1024ELj5ELj64ELN6hipcub21WarpExchangeAlgorithmE0E18StripedToBlockedOp6__halfEvPT4_S5_.kd
    .uniform_work_group_size: 1
    .uses_dynamic_stack: false
    .vgpr_count:     7
    .vgpr_spill_count: 0
    .wavefront_size: 64
  - .agpr_count:     0
    .args:
      - .address_space:  global
        .offset:         0
        .size:           8
        .value_kind:     global_buffer
      - .address_space:  global
        .offset:         8
        .size:           8
        .value_kind:     global_buffer
    .group_segment_fixed_size: 8192
    .kernarg_segment_align: 8
    .kernarg_segment_size: 16
    .language:       OpenCL C
    .language_version:
      - 2
      - 0
    .max_flat_workgroup_size: 1024
    .name:           _Z20warp_exchange_kernelILj1024ELj4ELj64ELN6hipcub21WarpExchangeAlgorithmE0E18StripedToBlockedOp6__halfEvPT4_S5_
    .private_segment_fixed_size: 0
    .sgpr_count:     10
    .sgpr_spill_count: 0
    .symbol:         _Z20warp_exchange_kernelILj1024ELj4ELj64ELN6hipcub21WarpExchangeAlgorithmE0E18StripedToBlockedOp6__halfEvPT4_S5_.kd
    .uniform_work_group_size: 1
    .uses_dynamic_stack: false
    .vgpr_count:     6
    .vgpr_spill_count: 0
    .wavefront_size: 64
  - .agpr_count:     0
    .args:
      - .address_space:  global
        .offset:         0
        .size:           8
        .value_kind:     global_buffer
      - .address_space:  global
        .offset:         8
        .size:           8
        .value_kind:     global_buffer
    .group_segment_fixed_size: 2048
    .kernarg_segment_align: 8
    .kernarg_segment_size: 16
    .language:       OpenCL C
    .language_version:
      - 2
      - 0
    .max_flat_workgroup_size: 1024
    .name:           _Z20warp_exchange_kernelILj1024ELj1ELj64ELN6hipcub21WarpExchangeAlgorithmE0E18StripedToBlockedOp6__halfEvPT4_S5_
    .private_segment_fixed_size: 0
    .sgpr_count:     10
    .sgpr_spill_count: 0
    .symbol:         _Z20warp_exchange_kernelILj1024ELj1ELj64ELN6hipcub21WarpExchangeAlgorithmE0E18StripedToBlockedOp6__halfEvPT4_S5_.kd
    .uniform_work_group_size: 1
    .uses_dynamic_stack: false
    .vgpr_count:     4
    .vgpr_spill_count: 0
    .wavefront_size: 64
  - .agpr_count:     0
    .args:
      - .address_space:  global
        .offset:         0
        .size:           8
        .value_kind:     global_buffer
      - .address_space:  global
        .offset:         8
        .size:           8
        .value_kind:     global_buffer
    .group_segment_fixed_size: 10240
    .kernarg_segment_align: 8
    .kernarg_segment_size: 16
    .language:       OpenCL C
    .language_version:
      - 2
      - 0
    .max_flat_workgroup_size: 1024
    .name:           _Z20warp_exchange_kernelILj1024ELj5ELj32ELN6hipcub21WarpExchangeAlgorithmE0E18StripedToBlockedOp6__halfEvPT4_S5_
    .private_segment_fixed_size: 0
    .sgpr_count:     10
    .sgpr_spill_count: 0
    .symbol:         _Z20warp_exchange_kernelILj1024ELj5ELj32ELN6hipcub21WarpExchangeAlgorithmE0E18StripedToBlockedOp6__halfEvPT4_S5_.kd
    .uniform_work_group_size: 1
    .uses_dynamic_stack: false
    .vgpr_count:     6
    .vgpr_spill_count: 0
    .wavefront_size: 64
  - .agpr_count:     0
    .args:
      - .address_space:  global
        .offset:         0
        .size:           8
        .value_kind:     global_buffer
      - .address_space:  global
        .offset:         8
        .size:           8
        .value_kind:     global_buffer
    .group_segment_fixed_size: 8192
    .kernarg_segment_align: 8
    .kernarg_segment_size: 16
    .language:       OpenCL C
    .language_version:
      - 2
      - 0
    .max_flat_workgroup_size: 1024
    .name:           _Z20warp_exchange_kernelILj1024ELj4ELj32ELN6hipcub21WarpExchangeAlgorithmE0E18StripedToBlockedOp6__halfEvPT4_S5_
    .private_segment_fixed_size: 0
    .sgpr_count:     10
    .sgpr_spill_count: 0
    .symbol:         _Z20warp_exchange_kernelILj1024ELj4ELj32ELN6hipcub21WarpExchangeAlgorithmE0E18StripedToBlockedOp6__halfEvPT4_S5_.kd
    .uniform_work_group_size: 1
    .uses_dynamic_stack: false
    .vgpr_count:     5
    .vgpr_spill_count: 0
    .wavefront_size: 64
  - .agpr_count:     0
    .args:
      - .address_space:  global
        .offset:         0
        .size:           8
        .value_kind:     global_buffer
      - .address_space:  global
        .offset:         8
        .size:           8
        .value_kind:     global_buffer
    .group_segment_fixed_size: 2048
    .kernarg_segment_align: 8
    .kernarg_segment_size: 16
    .language:       OpenCL C
    .language_version:
      - 2
      - 0
    .max_flat_workgroup_size: 1024
    .name:           _Z20warp_exchange_kernelILj1024ELj1ELj32ELN6hipcub21WarpExchangeAlgorithmE0E18StripedToBlockedOp6__halfEvPT4_S5_
    .private_segment_fixed_size: 0
    .sgpr_count:     10
    .sgpr_spill_count: 0
    .symbol:         _Z20warp_exchange_kernelILj1024ELj1ELj32ELN6hipcub21WarpExchangeAlgorithmE0E18StripedToBlockedOp6__halfEvPT4_S5_.kd
    .uniform_work_group_size: 1
    .uses_dynamic_stack: false
    .vgpr_count:     3
    .vgpr_spill_count: 0
    .wavefront_size: 64
  - .agpr_count:     0
    .args:
      - .address_space:  global
        .offset:         0
        .size:           8
        .value_kind:     global_buffer
      - .address_space:  global
        .offset:         8
        .size:           8
        .value_kind:     global_buffer
    .group_segment_fixed_size: 10240
    .kernarg_segment_align: 8
    .kernarg_segment_size: 16
    .language:       OpenCL C
    .language_version:
      - 2
      - 0
    .max_flat_workgroup_size: 1024
    .name:           _Z20warp_exchange_kernelILj1024ELj5ELj16ELN6hipcub21WarpExchangeAlgorithmE0E18StripedToBlockedOp6__halfEvPT4_S5_
    .private_segment_fixed_size: 0
    .sgpr_count:     10
    .sgpr_spill_count: 0
    .symbol:         _Z20warp_exchange_kernelILj1024ELj5ELj16ELN6hipcub21WarpExchangeAlgorithmE0E18StripedToBlockedOp6__halfEvPT4_S5_.kd
    .uniform_work_group_size: 1
    .uses_dynamic_stack: false
    .vgpr_count:     6
    .vgpr_spill_count: 0
    .wavefront_size: 64
  - .agpr_count:     0
    .args:
      - .address_space:  global
        .offset:         0
        .size:           8
        .value_kind:     global_buffer
      - .address_space:  global
        .offset:         8
        .size:           8
        .value_kind:     global_buffer
    .group_segment_fixed_size: 8192
    .kernarg_segment_align: 8
    .kernarg_segment_size: 16
    .language:       OpenCL C
    .language_version:
      - 2
      - 0
    .max_flat_workgroup_size: 1024
    .name:           _Z20warp_exchange_kernelILj1024ELj4ELj16ELN6hipcub21WarpExchangeAlgorithmE0E18StripedToBlockedOp6__halfEvPT4_S5_
    .private_segment_fixed_size: 0
    .sgpr_count:     10
    .sgpr_spill_count: 0
    .symbol:         _Z20warp_exchange_kernelILj1024ELj4ELj16ELN6hipcub21WarpExchangeAlgorithmE0E18StripedToBlockedOp6__halfEvPT4_S5_.kd
    .uniform_work_group_size: 1
    .uses_dynamic_stack: false
    .vgpr_count:     5
    .vgpr_spill_count: 0
    .wavefront_size: 64
  - .agpr_count:     0
    .args:
      - .address_space:  global
        .offset:         0
        .size:           8
        .value_kind:     global_buffer
      - .address_space:  global
        .offset:         8
        .size:           8
        .value_kind:     global_buffer
    .group_segment_fixed_size: 2048
    .kernarg_segment_align: 8
    .kernarg_segment_size: 16
    .language:       OpenCL C
    .language_version:
      - 2
      - 0
    .max_flat_workgroup_size: 1024
    .name:           _Z20warp_exchange_kernelILj1024ELj1ELj16ELN6hipcub21WarpExchangeAlgorithmE0E18StripedToBlockedOp6__halfEvPT4_S5_
    .private_segment_fixed_size: 0
    .sgpr_count:     10
    .sgpr_spill_count: 0
    .symbol:         _Z20warp_exchange_kernelILj1024ELj1ELj16ELN6hipcub21WarpExchangeAlgorithmE0E18StripedToBlockedOp6__halfEvPT4_S5_.kd
    .uniform_work_group_size: 1
    .uses_dynamic_stack: false
    .vgpr_count:     3
    .vgpr_spill_count: 0
    .wavefront_size: 64
  - .agpr_count:     0
    .args:
      - .address_space:  global
        .offset:         0
        .size:           8
        .value_kind:     global_buffer
      - .address_space:  global
        .offset:         8
        .size:           8
        .value_kind:     global_buffer
    .group_segment_fixed_size: 10240
    .kernarg_segment_align: 8
    .kernarg_segment_size: 16
    .language:       OpenCL C
    .language_version:
      - 2
      - 0
    .max_flat_workgroup_size: 1024
    .name:           _Z20warp_exchange_kernelILj1024ELj5ELj8ELN6hipcub21WarpExchangeAlgorithmE0E18StripedToBlockedOp6__halfEvPT4_S5_
    .private_segment_fixed_size: 0
    .sgpr_count:     10
    .sgpr_spill_count: 0
    .symbol:         _Z20warp_exchange_kernelILj1024ELj5ELj8ELN6hipcub21WarpExchangeAlgorithmE0E18StripedToBlockedOp6__halfEvPT4_S5_.kd
    .uniform_work_group_size: 1
    .uses_dynamic_stack: false
    .vgpr_count:     6
    .vgpr_spill_count: 0
    .wavefront_size: 64
  - .agpr_count:     0
    .args:
      - .address_space:  global
        .offset:         0
        .size:           8
        .value_kind:     global_buffer
      - .address_space:  global
        .offset:         8
        .size:           8
        .value_kind:     global_buffer
    .group_segment_fixed_size: 8192
    .kernarg_segment_align: 8
    .kernarg_segment_size: 16
    .language:       OpenCL C
    .language_version:
      - 2
      - 0
    .max_flat_workgroup_size: 1024
    .name:           _Z20warp_exchange_kernelILj1024ELj4ELj8ELN6hipcub21WarpExchangeAlgorithmE0E18StripedToBlockedOp6__halfEvPT4_S5_
    .private_segment_fixed_size: 0
    .sgpr_count:     10
    .sgpr_spill_count: 0
    .symbol:         _Z20warp_exchange_kernelILj1024ELj4ELj8ELN6hipcub21WarpExchangeAlgorithmE0E18StripedToBlockedOp6__halfEvPT4_S5_.kd
    .uniform_work_group_size: 1
    .uses_dynamic_stack: false
    .vgpr_count:     5
    .vgpr_spill_count: 0
    .wavefront_size: 64
  - .agpr_count:     0
    .args:
      - .address_space:  global
        .offset:         0
        .size:           8
        .value_kind:     global_buffer
      - .address_space:  global
        .offset:         8
        .size:           8
        .value_kind:     global_buffer
    .group_segment_fixed_size: 2048
    .kernarg_segment_align: 8
    .kernarg_segment_size: 16
    .language:       OpenCL C
    .language_version:
      - 2
      - 0
    .max_flat_workgroup_size: 1024
    .name:           _Z20warp_exchange_kernelILj1024ELj1ELj8ELN6hipcub21WarpExchangeAlgorithmE0E18StripedToBlockedOp6__halfEvPT4_S5_
    .private_segment_fixed_size: 0
    .sgpr_count:     10
    .sgpr_spill_count: 0
    .symbol:         _Z20warp_exchange_kernelILj1024ELj1ELj8ELN6hipcub21WarpExchangeAlgorithmE0E18StripedToBlockedOp6__halfEvPT4_S5_.kd
    .uniform_work_group_size: 1
    .uses_dynamic_stack: false
    .vgpr_count:     3
    .vgpr_spill_count: 0
    .wavefront_size: 64
  - .agpr_count:     0
    .args:
      - .address_space:  global
        .offset:         0
        .size:           8
        .value_kind:     global_buffer
      - .address_space:  global
        .offset:         8
        .size:           8
        .value_kind:     global_buffer
    .group_segment_fixed_size: 40960
    .kernarg_segment_align: 8
    .kernarg_segment_size: 16
    .language:       OpenCL C
    .language_version:
      - 2
      - 0
    .max_flat_workgroup_size: 1024
    .name:           _Z20warp_exchange_kernelILj1024ELj5ELj64ELN6hipcub21WarpExchangeAlgorithmE0E18StripedToBlockedOpdEvPT4_S4_
    .private_segment_fixed_size: 0
    .sgpr_count:     10
    .sgpr_spill_count: 0
    .symbol:         _Z20warp_exchange_kernelILj1024ELj5ELj64ELN6hipcub21WarpExchangeAlgorithmE0E18StripedToBlockedOpdEvPT4_S4_.kd
    .uniform_work_group_size: 1
    .uses_dynamic_stack: false
    .vgpr_count:     15
    .vgpr_spill_count: 0
    .wavefront_size: 64
  - .agpr_count:     0
    .args:
      - .address_space:  global
        .offset:         0
        .size:           8
        .value_kind:     global_buffer
      - .address_space:  global
        .offset:         8
        .size:           8
        .value_kind:     global_buffer
    .group_segment_fixed_size: 32768
    .kernarg_segment_align: 8
    .kernarg_segment_size: 16
    .language:       OpenCL C
    .language_version:
      - 2
      - 0
    .max_flat_workgroup_size: 1024
    .name:           _Z20warp_exchange_kernelILj1024ELj4ELj64ELN6hipcub21WarpExchangeAlgorithmE0E18StripedToBlockedOpdEvPT4_S4_
    .private_segment_fixed_size: 0
    .sgpr_count:     10
    .sgpr_spill_count: 0
    .symbol:         _Z20warp_exchange_kernelILj1024ELj4ELj64ELN6hipcub21WarpExchangeAlgorithmE0E18StripedToBlockedOpdEvPT4_S4_.kd
    .uniform_work_group_size: 1
    .uses_dynamic_stack: false
    .vgpr_count:     12
    .vgpr_spill_count: 0
    .wavefront_size: 64
  - .agpr_count:     0
    .args:
      - .address_space:  global
        .offset:         0
        .size:           8
        .value_kind:     global_buffer
      - .address_space:  global
        .offset:         8
        .size:           8
        .value_kind:     global_buffer
    .group_segment_fixed_size: 8192
    .kernarg_segment_align: 8
    .kernarg_segment_size: 16
    .language:       OpenCL C
    .language_version:
      - 2
      - 0
    .max_flat_workgroup_size: 1024
    .name:           _Z20warp_exchange_kernelILj1024ELj1ELj64ELN6hipcub21WarpExchangeAlgorithmE0E18StripedToBlockedOpdEvPT4_S4_
    .private_segment_fixed_size: 0
    .sgpr_count:     10
    .sgpr_spill_count: 0
    .symbol:         _Z20warp_exchange_kernelILj1024ELj1ELj64ELN6hipcub21WarpExchangeAlgorithmE0E18StripedToBlockedOpdEvPT4_S4_.kd
    .uniform_work_group_size: 1
    .uses_dynamic_stack: false
    .vgpr_count:     5
    .vgpr_spill_count: 0
    .wavefront_size: 64
  - .agpr_count:     0
    .args:
      - .address_space:  global
        .offset:         0
        .size:           8
        .value_kind:     global_buffer
      - .address_space:  global
        .offset:         8
        .size:           8
        .value_kind:     global_buffer
    .group_segment_fixed_size: 40960
    .kernarg_segment_align: 8
    .kernarg_segment_size: 16
    .language:       OpenCL C
    .language_version:
      - 2
      - 0
    .max_flat_workgroup_size: 1024
    .name:           _Z20warp_exchange_kernelILj1024ELj5ELj32ELN6hipcub21WarpExchangeAlgorithmE0E18StripedToBlockedOpdEvPT4_S4_
    .private_segment_fixed_size: 0
    .sgpr_count:     10
    .sgpr_spill_count: 0
    .symbol:         _Z20warp_exchange_kernelILj1024ELj5ELj32ELN6hipcub21WarpExchangeAlgorithmE0E18StripedToBlockedOpdEvPT4_S4_.kd
    .uniform_work_group_size: 1
    .uses_dynamic_stack: false
    .vgpr_count:     14
    .vgpr_spill_count: 0
    .wavefront_size: 64
  - .agpr_count:     0
    .args:
      - .address_space:  global
        .offset:         0
        .size:           8
        .value_kind:     global_buffer
      - .address_space:  global
        .offset:         8
        .size:           8
        .value_kind:     global_buffer
    .group_segment_fixed_size: 32768
    .kernarg_segment_align: 8
    .kernarg_segment_size: 16
    .language:       OpenCL C
    .language_version:
      - 2
      - 0
    .max_flat_workgroup_size: 1024
    .name:           _Z20warp_exchange_kernelILj1024ELj4ELj32ELN6hipcub21WarpExchangeAlgorithmE0E18StripedToBlockedOpdEvPT4_S4_
    .private_segment_fixed_size: 0
    .sgpr_count:     10
    .sgpr_spill_count: 0
    .symbol:         _Z20warp_exchange_kernelILj1024ELj4ELj32ELN6hipcub21WarpExchangeAlgorithmE0E18StripedToBlockedOpdEvPT4_S4_.kd
    .uniform_work_group_size: 1
    .uses_dynamic_stack: false
    .vgpr_count:     11
    .vgpr_spill_count: 0
    .wavefront_size: 64
  - .agpr_count:     0
    .args:
      - .address_space:  global
        .offset:         0
        .size:           8
        .value_kind:     global_buffer
      - .address_space:  global
        .offset:         8
        .size:           8
        .value_kind:     global_buffer
    .group_segment_fixed_size: 8192
    .kernarg_segment_align: 8
    .kernarg_segment_size: 16
    .language:       OpenCL C
    .language_version:
      - 2
      - 0
    .max_flat_workgroup_size: 1024
    .name:           _Z20warp_exchange_kernelILj1024ELj1ELj32ELN6hipcub21WarpExchangeAlgorithmE0E18StripedToBlockedOpdEvPT4_S4_
    .private_segment_fixed_size: 0
    .sgpr_count:     10
    .sgpr_spill_count: 0
    .symbol:         _Z20warp_exchange_kernelILj1024ELj1ELj32ELN6hipcub21WarpExchangeAlgorithmE0E18StripedToBlockedOpdEvPT4_S4_.kd
    .uniform_work_group_size: 1
    .uses_dynamic_stack: false
    .vgpr_count:     4
    .vgpr_spill_count: 0
    .wavefront_size: 64
  - .agpr_count:     0
    .args:
      - .address_space:  global
        .offset:         0
        .size:           8
        .value_kind:     global_buffer
      - .address_space:  global
        .offset:         8
        .size:           8
        .value_kind:     global_buffer
    .group_segment_fixed_size: 40960
    .kernarg_segment_align: 8
    .kernarg_segment_size: 16
    .language:       OpenCL C
    .language_version:
      - 2
      - 0
    .max_flat_workgroup_size: 1024
    .name:           _Z20warp_exchange_kernelILj1024ELj5ELj16ELN6hipcub21WarpExchangeAlgorithmE0E18StripedToBlockedOpdEvPT4_S4_
    .private_segment_fixed_size: 0
    .sgpr_count:     10
    .sgpr_spill_count: 0
    .symbol:         _Z20warp_exchange_kernelILj1024ELj5ELj16ELN6hipcub21WarpExchangeAlgorithmE0E18StripedToBlockedOpdEvPT4_S4_.kd
    .uniform_work_group_size: 1
    .uses_dynamic_stack: false
    .vgpr_count:     14
    .vgpr_spill_count: 0
    .wavefront_size: 64
  - .agpr_count:     0
    .args:
      - .address_space:  global
        .offset:         0
        .size:           8
        .value_kind:     global_buffer
      - .address_space:  global
        .offset:         8
        .size:           8
        .value_kind:     global_buffer
    .group_segment_fixed_size: 32768
    .kernarg_segment_align: 8
    .kernarg_segment_size: 16
    .language:       OpenCL C
    .language_version:
      - 2
      - 0
    .max_flat_workgroup_size: 1024
    .name:           _Z20warp_exchange_kernelILj1024ELj4ELj16ELN6hipcub21WarpExchangeAlgorithmE0E18StripedToBlockedOpdEvPT4_S4_
    .private_segment_fixed_size: 0
    .sgpr_count:     10
    .sgpr_spill_count: 0
    .symbol:         _Z20warp_exchange_kernelILj1024ELj4ELj16ELN6hipcub21WarpExchangeAlgorithmE0E18StripedToBlockedOpdEvPT4_S4_.kd
    .uniform_work_group_size: 1
    .uses_dynamic_stack: false
    .vgpr_count:     11
    .vgpr_spill_count: 0
    .wavefront_size: 64
  - .agpr_count:     0
    .args:
      - .address_space:  global
        .offset:         0
        .size:           8
        .value_kind:     global_buffer
      - .address_space:  global
        .offset:         8
        .size:           8
        .value_kind:     global_buffer
    .group_segment_fixed_size: 8192
    .kernarg_segment_align: 8
    .kernarg_segment_size: 16
    .language:       OpenCL C
    .language_version:
      - 2
      - 0
    .max_flat_workgroup_size: 1024
    .name:           _Z20warp_exchange_kernelILj1024ELj1ELj16ELN6hipcub21WarpExchangeAlgorithmE0E18StripedToBlockedOpdEvPT4_S4_
    .private_segment_fixed_size: 0
    .sgpr_count:     10
    .sgpr_spill_count: 0
    .symbol:         _Z20warp_exchange_kernelILj1024ELj1ELj16ELN6hipcub21WarpExchangeAlgorithmE0E18StripedToBlockedOpdEvPT4_S4_.kd
    .uniform_work_group_size: 1
    .uses_dynamic_stack: false
    .vgpr_count:     4
    .vgpr_spill_count: 0
    .wavefront_size: 64
  - .agpr_count:     0
    .args:
      - .address_space:  global
        .offset:         0
        .size:           8
        .value_kind:     global_buffer
      - .address_space:  global
        .offset:         8
        .size:           8
        .value_kind:     global_buffer
    .group_segment_fixed_size: 40960
    .kernarg_segment_align: 8
    .kernarg_segment_size: 16
    .language:       OpenCL C
    .language_version:
      - 2
      - 0
    .max_flat_workgroup_size: 1024
    .name:           _Z20warp_exchange_kernelILj1024ELj5ELj8ELN6hipcub21WarpExchangeAlgorithmE0E18StripedToBlockedOpdEvPT4_S4_
    .private_segment_fixed_size: 0
    .sgpr_count:     10
    .sgpr_spill_count: 0
    .symbol:         _Z20warp_exchange_kernelILj1024ELj5ELj8ELN6hipcub21WarpExchangeAlgorithmE0E18StripedToBlockedOpdEvPT4_S4_.kd
    .uniform_work_group_size: 1
    .uses_dynamic_stack: false
    .vgpr_count:     14
    .vgpr_spill_count: 0
    .wavefront_size: 64
  - .agpr_count:     0
    .args:
      - .address_space:  global
        .offset:         0
        .size:           8
        .value_kind:     global_buffer
      - .address_space:  global
        .offset:         8
        .size:           8
        .value_kind:     global_buffer
    .group_segment_fixed_size: 32768
    .kernarg_segment_align: 8
    .kernarg_segment_size: 16
    .language:       OpenCL C
    .language_version:
      - 2
      - 0
    .max_flat_workgroup_size: 1024
    .name:           _Z20warp_exchange_kernelILj1024ELj4ELj8ELN6hipcub21WarpExchangeAlgorithmE0E18StripedToBlockedOpdEvPT4_S4_
    .private_segment_fixed_size: 0
    .sgpr_count:     10
    .sgpr_spill_count: 0
    .symbol:         _Z20warp_exchange_kernelILj1024ELj4ELj8ELN6hipcub21WarpExchangeAlgorithmE0E18StripedToBlockedOpdEvPT4_S4_.kd
    .uniform_work_group_size: 1
    .uses_dynamic_stack: false
    .vgpr_count:     11
    .vgpr_spill_count: 0
    .wavefront_size: 64
  - .agpr_count:     0
    .args:
      - .address_space:  global
        .offset:         0
        .size:           8
        .value_kind:     global_buffer
      - .address_space:  global
        .offset:         8
        .size:           8
        .value_kind:     global_buffer
    .group_segment_fixed_size: 8192
    .kernarg_segment_align: 8
    .kernarg_segment_size: 16
    .language:       OpenCL C
    .language_version:
      - 2
      - 0
    .max_flat_workgroup_size: 1024
    .name:           _Z20warp_exchange_kernelILj1024ELj1ELj8ELN6hipcub21WarpExchangeAlgorithmE0E18StripedToBlockedOpdEvPT4_S4_
    .private_segment_fixed_size: 0
    .sgpr_count:     10
    .sgpr_spill_count: 0
    .symbol:         _Z20warp_exchange_kernelILj1024ELj1ELj8ELN6hipcub21WarpExchangeAlgorithmE0E18StripedToBlockedOpdEvPT4_S4_.kd
    .uniform_work_group_size: 1
    .uses_dynamic_stack: false
    .vgpr_count:     4
    .vgpr_spill_count: 0
    .wavefront_size: 64
  - .agpr_count:     0
    .args:
      - .address_space:  global
        .offset:         0
        .size:           8
        .value_kind:     global_buffer
      - .address_space:  global
        .offset:         8
        .size:           8
        .value_kind:     global_buffer
    .group_segment_fixed_size: 20480
    .kernarg_segment_align: 8
    .kernarg_segment_size: 16
    .language:       OpenCL C
    .language_version:
      - 2
      - 0
    .max_flat_workgroup_size: 1024
    .name:           _Z20warp_exchange_kernelILj1024ELj5ELj64ELN6hipcub21WarpExchangeAlgorithmE0E18StripedToBlockedOpiEvPT4_S4_
    .private_segment_fixed_size: 0
    .sgpr_count:     10
    .sgpr_spill_count: 0
    .symbol:         _Z20warp_exchange_kernelILj1024ELj5ELj64ELN6hipcub21WarpExchangeAlgorithmE0E18StripedToBlockedOpiEvPT4_S4_.kd
    .uniform_work_group_size: 1
    .uses_dynamic_stack: false
    .vgpr_count:     9
    .vgpr_spill_count: 0
    .wavefront_size: 64
  - .agpr_count:     0
    .args:
      - .address_space:  global
        .offset:         0
        .size:           8
        .value_kind:     global_buffer
      - .address_space:  global
        .offset:         8
        .size:           8
        .value_kind:     global_buffer
    .group_segment_fixed_size: 16384
    .kernarg_segment_align: 8
    .kernarg_segment_size: 16
    .language:       OpenCL C
    .language_version:
      - 2
      - 0
    .max_flat_workgroup_size: 1024
    .name:           _Z20warp_exchange_kernelILj1024ELj4ELj64ELN6hipcub21WarpExchangeAlgorithmE0E18StripedToBlockedOpiEvPT4_S4_
    .private_segment_fixed_size: 0
    .sgpr_count:     10
    .sgpr_spill_count: 0
    .symbol:         _Z20warp_exchange_kernelILj1024ELj4ELj64ELN6hipcub21WarpExchangeAlgorithmE0E18StripedToBlockedOpiEvPT4_S4_.kd
    .uniform_work_group_size: 1
    .uses_dynamic_stack: false
    .vgpr_count:     8
    .vgpr_spill_count: 0
    .wavefront_size: 64
  - .agpr_count:     0
    .args:
      - .address_space:  global
        .offset:         0
        .size:           8
        .value_kind:     global_buffer
      - .address_space:  global
        .offset:         8
        .size:           8
        .value_kind:     global_buffer
    .group_segment_fixed_size: 4096
    .kernarg_segment_align: 8
    .kernarg_segment_size: 16
    .language:       OpenCL C
    .language_version:
      - 2
      - 0
    .max_flat_workgroup_size: 1024
    .name:           _Z20warp_exchange_kernelILj1024ELj1ELj64ELN6hipcub21WarpExchangeAlgorithmE0E18StripedToBlockedOpiEvPT4_S4_
    .private_segment_fixed_size: 0
    .sgpr_count:     10
    .sgpr_spill_count: 0
    .symbol:         _Z20warp_exchange_kernelILj1024ELj1ELj64ELN6hipcub21WarpExchangeAlgorithmE0E18StripedToBlockedOpiEvPT4_S4_.kd
    .uniform_work_group_size: 1
    .uses_dynamic_stack: false
    .vgpr_count:     4
    .vgpr_spill_count: 0
    .wavefront_size: 64
  - .agpr_count:     0
    .args:
      - .address_space:  global
        .offset:         0
        .size:           8
        .value_kind:     global_buffer
      - .address_space:  global
        .offset:         8
        .size:           8
        .value_kind:     global_buffer
    .group_segment_fixed_size: 20480
    .kernarg_segment_align: 8
    .kernarg_segment_size: 16
    .language:       OpenCL C
    .language_version:
      - 2
      - 0
    .max_flat_workgroup_size: 1024
    .name:           _Z20warp_exchange_kernelILj1024ELj5ELj32ELN6hipcub21WarpExchangeAlgorithmE0E18StripedToBlockedOpiEvPT4_S4_
    .private_segment_fixed_size: 0
    .sgpr_count:     10
    .sgpr_spill_count: 0
    .symbol:         _Z20warp_exchange_kernelILj1024ELj5ELj32ELN6hipcub21WarpExchangeAlgorithmE0E18StripedToBlockedOpiEvPT4_S4_.kd
    .uniform_work_group_size: 1
    .uses_dynamic_stack: false
    .vgpr_count:     8
    .vgpr_spill_count: 0
    .wavefront_size: 64
  - .agpr_count:     0
    .args:
      - .address_space:  global
        .offset:         0
        .size:           8
        .value_kind:     global_buffer
      - .address_space:  global
        .offset:         8
        .size:           8
        .value_kind:     global_buffer
    .group_segment_fixed_size: 16384
    .kernarg_segment_align: 8
    .kernarg_segment_size: 16
    .language:       OpenCL C
    .language_version:
      - 2
      - 0
    .max_flat_workgroup_size: 1024
    .name:           _Z20warp_exchange_kernelILj1024ELj4ELj32ELN6hipcub21WarpExchangeAlgorithmE0E18StripedToBlockedOpiEvPT4_S4_
    .private_segment_fixed_size: 0
    .sgpr_count:     10
    .sgpr_spill_count: 0
    .symbol:         _Z20warp_exchange_kernelILj1024ELj4ELj32ELN6hipcub21WarpExchangeAlgorithmE0E18StripedToBlockedOpiEvPT4_S4_.kd
    .uniform_work_group_size: 1
    .uses_dynamic_stack: false
    .vgpr_count:     7
    .vgpr_spill_count: 0
    .wavefront_size: 64
  - .agpr_count:     0
    .args:
      - .address_space:  global
        .offset:         0
        .size:           8
        .value_kind:     global_buffer
      - .address_space:  global
        .offset:         8
        .size:           8
        .value_kind:     global_buffer
    .group_segment_fixed_size: 4096
    .kernarg_segment_align: 8
    .kernarg_segment_size: 16
    .language:       OpenCL C
    .language_version:
      - 2
      - 0
    .max_flat_workgroup_size: 1024
    .name:           _Z20warp_exchange_kernelILj1024ELj1ELj32ELN6hipcub21WarpExchangeAlgorithmE0E18StripedToBlockedOpiEvPT4_S4_
    .private_segment_fixed_size: 0
    .sgpr_count:     10
    .sgpr_spill_count: 0
    .symbol:         _Z20warp_exchange_kernelILj1024ELj1ELj32ELN6hipcub21WarpExchangeAlgorithmE0E18StripedToBlockedOpiEvPT4_S4_.kd
    .uniform_work_group_size: 1
    .uses_dynamic_stack: false
    .vgpr_count:     3
    .vgpr_spill_count: 0
    .wavefront_size: 64
  - .agpr_count:     0
    .args:
      - .address_space:  global
        .offset:         0
        .size:           8
        .value_kind:     global_buffer
      - .address_space:  global
        .offset:         8
        .size:           8
        .value_kind:     global_buffer
    .group_segment_fixed_size: 20480
    .kernarg_segment_align: 8
    .kernarg_segment_size: 16
    .language:       OpenCL C
    .language_version:
      - 2
      - 0
    .max_flat_workgroup_size: 1024
    .name:           _Z20warp_exchange_kernelILj1024ELj5ELj16ELN6hipcub21WarpExchangeAlgorithmE0E18StripedToBlockedOpiEvPT4_S4_
    .private_segment_fixed_size: 0
    .sgpr_count:     10
    .sgpr_spill_count: 0
    .symbol:         _Z20warp_exchange_kernelILj1024ELj5ELj16ELN6hipcub21WarpExchangeAlgorithmE0E18StripedToBlockedOpiEvPT4_S4_.kd
    .uniform_work_group_size: 1
    .uses_dynamic_stack: false
    .vgpr_count:     8
    .vgpr_spill_count: 0
    .wavefront_size: 64
  - .agpr_count:     0
    .args:
      - .address_space:  global
        .offset:         0
        .size:           8
        .value_kind:     global_buffer
      - .address_space:  global
        .offset:         8
        .size:           8
        .value_kind:     global_buffer
    .group_segment_fixed_size: 16384
    .kernarg_segment_align: 8
    .kernarg_segment_size: 16
    .language:       OpenCL C
    .language_version:
      - 2
      - 0
    .max_flat_workgroup_size: 1024
    .name:           _Z20warp_exchange_kernelILj1024ELj4ELj16ELN6hipcub21WarpExchangeAlgorithmE0E18StripedToBlockedOpiEvPT4_S4_
    .private_segment_fixed_size: 0
    .sgpr_count:     10
    .sgpr_spill_count: 0
    .symbol:         _Z20warp_exchange_kernelILj1024ELj4ELj16ELN6hipcub21WarpExchangeAlgorithmE0E18StripedToBlockedOpiEvPT4_S4_.kd
    .uniform_work_group_size: 1
    .uses_dynamic_stack: false
    .vgpr_count:     7
    .vgpr_spill_count: 0
    .wavefront_size: 64
  - .agpr_count:     0
    .args:
      - .address_space:  global
        .offset:         0
        .size:           8
        .value_kind:     global_buffer
      - .address_space:  global
        .offset:         8
        .size:           8
        .value_kind:     global_buffer
    .group_segment_fixed_size: 4096
    .kernarg_segment_align: 8
    .kernarg_segment_size: 16
    .language:       OpenCL C
    .language_version:
      - 2
      - 0
    .max_flat_workgroup_size: 1024
    .name:           _Z20warp_exchange_kernelILj1024ELj1ELj16ELN6hipcub21WarpExchangeAlgorithmE0E18StripedToBlockedOpiEvPT4_S4_
    .private_segment_fixed_size: 0
    .sgpr_count:     10
    .sgpr_spill_count: 0
    .symbol:         _Z20warp_exchange_kernelILj1024ELj1ELj16ELN6hipcub21WarpExchangeAlgorithmE0E18StripedToBlockedOpiEvPT4_S4_.kd
    .uniform_work_group_size: 1
    .uses_dynamic_stack: false
    .vgpr_count:     3
    .vgpr_spill_count: 0
    .wavefront_size: 64
  - .agpr_count:     0
    .args:
      - .address_space:  global
        .offset:         0
        .size:           8
        .value_kind:     global_buffer
      - .address_space:  global
        .offset:         8
        .size:           8
        .value_kind:     global_buffer
    .group_segment_fixed_size: 20480
    .kernarg_segment_align: 8
    .kernarg_segment_size: 16
    .language:       OpenCL C
    .language_version:
      - 2
      - 0
    .max_flat_workgroup_size: 1024
    .name:           _Z20warp_exchange_kernelILj1024ELj5ELj8ELN6hipcub21WarpExchangeAlgorithmE0E18StripedToBlockedOpiEvPT4_S4_
    .private_segment_fixed_size: 0
    .sgpr_count:     10
    .sgpr_spill_count: 0
    .symbol:         _Z20warp_exchange_kernelILj1024ELj5ELj8ELN6hipcub21WarpExchangeAlgorithmE0E18StripedToBlockedOpiEvPT4_S4_.kd
    .uniform_work_group_size: 1
    .uses_dynamic_stack: false
    .vgpr_count:     8
    .vgpr_spill_count: 0
    .wavefront_size: 64
  - .agpr_count:     0
    .args:
      - .address_space:  global
        .offset:         0
        .size:           8
        .value_kind:     global_buffer
      - .address_space:  global
        .offset:         8
        .size:           8
        .value_kind:     global_buffer
    .group_segment_fixed_size: 16384
    .kernarg_segment_align: 8
    .kernarg_segment_size: 16
    .language:       OpenCL C
    .language_version:
      - 2
      - 0
    .max_flat_workgroup_size: 1024
    .name:           _Z20warp_exchange_kernelILj1024ELj4ELj8ELN6hipcub21WarpExchangeAlgorithmE0E18StripedToBlockedOpiEvPT4_S4_
    .private_segment_fixed_size: 0
    .sgpr_count:     10
    .sgpr_spill_count: 0
    .symbol:         _Z20warp_exchange_kernelILj1024ELj4ELj8ELN6hipcub21WarpExchangeAlgorithmE0E18StripedToBlockedOpiEvPT4_S4_.kd
    .uniform_work_group_size: 1
    .uses_dynamic_stack: false
    .vgpr_count:     7
    .vgpr_spill_count: 0
    .wavefront_size: 64
  - .agpr_count:     0
    .args:
      - .address_space:  global
        .offset:         0
        .size:           8
        .value_kind:     global_buffer
      - .address_space:  global
        .offset:         8
        .size:           8
        .value_kind:     global_buffer
    .group_segment_fixed_size: 4096
    .kernarg_segment_align: 8
    .kernarg_segment_size: 16
    .language:       OpenCL C
    .language_version:
      - 2
      - 0
    .max_flat_workgroup_size: 1024
    .name:           _Z20warp_exchange_kernelILj1024ELj1ELj8ELN6hipcub21WarpExchangeAlgorithmE0E18StripedToBlockedOpiEvPT4_S4_
    .private_segment_fixed_size: 0
    .sgpr_count:     10
    .sgpr_spill_count: 0
    .symbol:         _Z20warp_exchange_kernelILj1024ELj1ELj8ELN6hipcub21WarpExchangeAlgorithmE0E18StripedToBlockedOpiEvPT4_S4_.kd
    .uniform_work_group_size: 1
    .uses_dynamic_stack: false
    .vgpr_count:     3
    .vgpr_spill_count: 0
    .wavefront_size: 64
  - .agpr_count:     0
    .args:
      - .address_space:  global
        .offset:         0
        .size:           8
        .value_kind:     global_buffer
      - .address_space:  global
        .offset:         8
        .size:           8
        .value_kind:     global_buffer
    .group_segment_fixed_size: 5120
    .kernarg_segment_align: 8
    .kernarg_segment_size: 16
    .language:       OpenCL C
    .language_version:
      - 2
      - 0
    .max_flat_workgroup_size: 1024
    .name:           _Z20warp_exchange_kernelILj1024ELj5ELj64ELN6hipcub21WarpExchangeAlgorithmE0E18StripedToBlockedOpcEvPT4_S4_
    .private_segment_fixed_size: 0
    .sgpr_count:     10
    .sgpr_spill_count: 0
    .symbol:         _Z20warp_exchange_kernelILj1024ELj5ELj64ELN6hipcub21WarpExchangeAlgorithmE0E18StripedToBlockedOpcEvPT4_S4_.kd
    .uniform_work_group_size: 1
    .uses_dynamic_stack: false
    .vgpr_count:     7
    .vgpr_spill_count: 0
    .wavefront_size: 64
  - .agpr_count:     0
    .args:
      - .address_space:  global
        .offset:         0
        .size:           8
        .value_kind:     global_buffer
      - .address_space:  global
        .offset:         8
        .size:           8
        .value_kind:     global_buffer
    .group_segment_fixed_size: 4096
    .kernarg_segment_align: 8
    .kernarg_segment_size: 16
    .language:       OpenCL C
    .language_version:
      - 2
      - 0
    .max_flat_workgroup_size: 1024
    .name:           _Z20warp_exchange_kernelILj1024ELj4ELj64ELN6hipcub21WarpExchangeAlgorithmE0E18StripedToBlockedOpcEvPT4_S4_
    .private_segment_fixed_size: 0
    .sgpr_count:     10
    .sgpr_spill_count: 0
    .symbol:         _Z20warp_exchange_kernelILj1024ELj4ELj64ELN6hipcub21WarpExchangeAlgorithmE0E18StripedToBlockedOpcEvPT4_S4_.kd
    .uniform_work_group_size: 1
    .uses_dynamic_stack: false
    .vgpr_count:     6
    .vgpr_spill_count: 0
    .wavefront_size: 64
  - .agpr_count:     0
    .args:
      - .address_space:  global
        .offset:         0
        .size:           8
        .value_kind:     global_buffer
      - .address_space:  global
        .offset:         8
        .size:           8
        .value_kind:     global_buffer
    .group_segment_fixed_size: 1024
    .kernarg_segment_align: 8
    .kernarg_segment_size: 16
    .language:       OpenCL C
    .language_version:
      - 2
      - 0
    .max_flat_workgroup_size: 1024
    .name:           _Z20warp_exchange_kernelILj1024ELj1ELj64ELN6hipcub21WarpExchangeAlgorithmE0E18StripedToBlockedOpcEvPT4_S4_
    .private_segment_fixed_size: 0
    .sgpr_count:     10
    .sgpr_spill_count: 0
    .symbol:         _Z20warp_exchange_kernelILj1024ELj1ELj64ELN6hipcub21WarpExchangeAlgorithmE0E18StripedToBlockedOpcEvPT4_S4_.kd
    .uniform_work_group_size: 1
    .uses_dynamic_stack: false
    .vgpr_count:     4
    .vgpr_spill_count: 0
    .wavefront_size: 64
  - .agpr_count:     0
    .args:
      - .address_space:  global
        .offset:         0
        .size:           8
        .value_kind:     global_buffer
      - .address_space:  global
        .offset:         8
        .size:           8
        .value_kind:     global_buffer
    .group_segment_fixed_size: 5120
    .kernarg_segment_align: 8
    .kernarg_segment_size: 16
    .language:       OpenCL C
    .language_version:
      - 2
      - 0
    .max_flat_workgroup_size: 1024
    .name:           _Z20warp_exchange_kernelILj1024ELj5ELj32ELN6hipcub21WarpExchangeAlgorithmE0E18StripedToBlockedOpcEvPT4_S4_
    .private_segment_fixed_size: 0
    .sgpr_count:     10
    .sgpr_spill_count: 0
    .symbol:         _Z20warp_exchange_kernelILj1024ELj5ELj32ELN6hipcub21WarpExchangeAlgorithmE0E18StripedToBlockedOpcEvPT4_S4_.kd
    .uniform_work_group_size: 1
    .uses_dynamic_stack: false
    .vgpr_count:     7
    .vgpr_spill_count: 0
    .wavefront_size: 64
  - .agpr_count:     0
    .args:
      - .address_space:  global
        .offset:         0
        .size:           8
        .value_kind:     global_buffer
      - .address_space:  global
        .offset:         8
        .size:           8
        .value_kind:     global_buffer
    .group_segment_fixed_size: 4096
    .kernarg_segment_align: 8
    .kernarg_segment_size: 16
    .language:       OpenCL C
    .language_version:
      - 2
      - 0
    .max_flat_workgroup_size: 1024
    .name:           _Z20warp_exchange_kernelILj1024ELj4ELj32ELN6hipcub21WarpExchangeAlgorithmE0E18StripedToBlockedOpcEvPT4_S4_
    .private_segment_fixed_size: 0
    .sgpr_count:     10
    .sgpr_spill_count: 0
    .symbol:         _Z20warp_exchange_kernelILj1024ELj4ELj32ELN6hipcub21WarpExchangeAlgorithmE0E18StripedToBlockedOpcEvPT4_S4_.kd
    .uniform_work_group_size: 1
    .uses_dynamic_stack: false
    .vgpr_count:     6
    .vgpr_spill_count: 0
    .wavefront_size: 64
  - .agpr_count:     0
    .args:
      - .address_space:  global
        .offset:         0
        .size:           8
        .value_kind:     global_buffer
      - .address_space:  global
        .offset:         8
        .size:           8
        .value_kind:     global_buffer
    .group_segment_fixed_size: 1024
    .kernarg_segment_align: 8
    .kernarg_segment_size: 16
    .language:       OpenCL C
    .language_version:
      - 2
      - 0
    .max_flat_workgroup_size: 1024
    .name:           _Z20warp_exchange_kernelILj1024ELj1ELj32ELN6hipcub21WarpExchangeAlgorithmE0E18StripedToBlockedOpcEvPT4_S4_
    .private_segment_fixed_size: 0
    .sgpr_count:     10
    .sgpr_spill_count: 0
    .symbol:         _Z20warp_exchange_kernelILj1024ELj1ELj32ELN6hipcub21WarpExchangeAlgorithmE0E18StripedToBlockedOpcEvPT4_S4_.kd
    .uniform_work_group_size: 1
    .uses_dynamic_stack: false
    .vgpr_count:     3
    .vgpr_spill_count: 0
    .wavefront_size: 64
  - .agpr_count:     0
    .args:
      - .address_space:  global
        .offset:         0
        .size:           8
        .value_kind:     global_buffer
      - .address_space:  global
        .offset:         8
        .size:           8
        .value_kind:     global_buffer
    .group_segment_fixed_size: 5120
    .kernarg_segment_align: 8
    .kernarg_segment_size: 16
    .language:       OpenCL C
    .language_version:
      - 2
      - 0
    .max_flat_workgroup_size: 1024
    .name:           _Z20warp_exchange_kernelILj1024ELj5ELj16ELN6hipcub21WarpExchangeAlgorithmE0E18StripedToBlockedOpcEvPT4_S4_
    .private_segment_fixed_size: 0
    .sgpr_count:     10
    .sgpr_spill_count: 0
    .symbol:         _Z20warp_exchange_kernelILj1024ELj5ELj16ELN6hipcub21WarpExchangeAlgorithmE0E18StripedToBlockedOpcEvPT4_S4_.kd
    .uniform_work_group_size: 1
    .uses_dynamic_stack: false
    .vgpr_count:     7
    .vgpr_spill_count: 0
    .wavefront_size: 64
  - .agpr_count:     0
    .args:
      - .address_space:  global
        .offset:         0
        .size:           8
        .value_kind:     global_buffer
      - .address_space:  global
        .offset:         8
        .size:           8
        .value_kind:     global_buffer
    .group_segment_fixed_size: 4096
    .kernarg_segment_align: 8
    .kernarg_segment_size: 16
    .language:       OpenCL C
    .language_version:
      - 2
      - 0
    .max_flat_workgroup_size: 1024
    .name:           _Z20warp_exchange_kernelILj1024ELj4ELj16ELN6hipcub21WarpExchangeAlgorithmE0E18StripedToBlockedOpcEvPT4_S4_
    .private_segment_fixed_size: 0
    .sgpr_count:     10
    .sgpr_spill_count: 0
    .symbol:         _Z20warp_exchange_kernelILj1024ELj4ELj16ELN6hipcub21WarpExchangeAlgorithmE0E18StripedToBlockedOpcEvPT4_S4_.kd
    .uniform_work_group_size: 1
    .uses_dynamic_stack: false
    .vgpr_count:     6
    .vgpr_spill_count: 0
    .wavefront_size: 64
  - .agpr_count:     0
    .args:
      - .address_space:  global
        .offset:         0
        .size:           8
        .value_kind:     global_buffer
      - .address_space:  global
        .offset:         8
        .size:           8
        .value_kind:     global_buffer
    .group_segment_fixed_size: 1024
    .kernarg_segment_align: 8
    .kernarg_segment_size: 16
    .language:       OpenCL C
    .language_version:
      - 2
      - 0
    .max_flat_workgroup_size: 1024
    .name:           _Z20warp_exchange_kernelILj1024ELj1ELj16ELN6hipcub21WarpExchangeAlgorithmE0E18StripedToBlockedOpcEvPT4_S4_
    .private_segment_fixed_size: 0
    .sgpr_count:     10
    .sgpr_spill_count: 0
    .symbol:         _Z20warp_exchange_kernelILj1024ELj1ELj16ELN6hipcub21WarpExchangeAlgorithmE0E18StripedToBlockedOpcEvPT4_S4_.kd
    .uniform_work_group_size: 1
    .uses_dynamic_stack: false
    .vgpr_count:     3
    .vgpr_spill_count: 0
    .wavefront_size: 64
  - .agpr_count:     0
    .args:
      - .address_space:  global
        .offset:         0
        .size:           8
        .value_kind:     global_buffer
      - .address_space:  global
        .offset:         8
        .size:           8
        .value_kind:     global_buffer
    .group_segment_fixed_size: 5120
    .kernarg_segment_align: 8
    .kernarg_segment_size: 16
    .language:       OpenCL C
    .language_version:
      - 2
      - 0
    .max_flat_workgroup_size: 1024
    .name:           _Z20warp_exchange_kernelILj1024ELj5ELj8ELN6hipcub21WarpExchangeAlgorithmE0E18StripedToBlockedOpcEvPT4_S4_
    .private_segment_fixed_size: 0
    .sgpr_count:     10
    .sgpr_spill_count: 0
    .symbol:         _Z20warp_exchange_kernelILj1024ELj5ELj8ELN6hipcub21WarpExchangeAlgorithmE0E18StripedToBlockedOpcEvPT4_S4_.kd
    .uniform_work_group_size: 1
    .uses_dynamic_stack: false
    .vgpr_count:     7
    .vgpr_spill_count: 0
    .wavefront_size: 64
  - .agpr_count:     0
    .args:
      - .address_space:  global
        .offset:         0
        .size:           8
        .value_kind:     global_buffer
      - .address_space:  global
        .offset:         8
        .size:           8
        .value_kind:     global_buffer
    .group_segment_fixed_size: 4096
    .kernarg_segment_align: 8
    .kernarg_segment_size: 16
    .language:       OpenCL C
    .language_version:
      - 2
      - 0
    .max_flat_workgroup_size: 1024
    .name:           _Z20warp_exchange_kernelILj1024ELj4ELj8ELN6hipcub21WarpExchangeAlgorithmE0E18StripedToBlockedOpcEvPT4_S4_
    .private_segment_fixed_size: 0
    .sgpr_count:     10
    .sgpr_spill_count: 0
    .symbol:         _Z20warp_exchange_kernelILj1024ELj4ELj8ELN6hipcub21WarpExchangeAlgorithmE0E18StripedToBlockedOpcEvPT4_S4_.kd
    .uniform_work_group_size: 1
    .uses_dynamic_stack: false
    .vgpr_count:     6
    .vgpr_spill_count: 0
    .wavefront_size: 64
  - .agpr_count:     0
    .args:
      - .address_space:  global
        .offset:         0
        .size:           8
        .value_kind:     global_buffer
      - .address_space:  global
        .offset:         8
        .size:           8
        .value_kind:     global_buffer
    .group_segment_fixed_size: 1024
    .kernarg_segment_align: 8
    .kernarg_segment_size: 16
    .language:       OpenCL C
    .language_version:
      - 2
      - 0
    .max_flat_workgroup_size: 1024
    .name:           _Z20warp_exchange_kernelILj1024ELj1ELj8ELN6hipcub21WarpExchangeAlgorithmE0E18StripedToBlockedOpcEvPT4_S4_
    .private_segment_fixed_size: 0
    .sgpr_count:     10
    .sgpr_spill_count: 0
    .symbol:         _Z20warp_exchange_kernelILj1024ELj1ELj8ELN6hipcub21WarpExchangeAlgorithmE0E18StripedToBlockedOpcEvPT4_S4_.kd
    .uniform_work_group_size: 1
    .uses_dynamic_stack: false
    .vgpr_count:     3
    .vgpr_spill_count: 0
    .wavefront_size: 64
  - .agpr_count:     0
    .args:
      - .address_space:  global
        .offset:         0
        .size:           8
        .value_kind:     global_buffer
      - .address_space:  global
        .offset:         8
        .size:           8
        .value_kind:     global_buffer
    .group_segment_fixed_size: 0
    .kernarg_segment_align: 8
    .kernarg_segment_size: 16
    .language:       OpenCL C
    .language_version:
      - 2
      - 0
    .max_flat_workgroup_size: 1024
    .name:           _Z20warp_exchange_kernelILj1024ELj4ELj64ELN6hipcub21WarpExchangeAlgorithmE1E18StripedToBlockedOp6__halfEvPT4_S5_
    .private_segment_fixed_size: 0
    .sgpr_count:     10
    .sgpr_spill_count: 0
    .symbol:         _Z20warp_exchange_kernelILj1024ELj4ELj64ELN6hipcub21WarpExchangeAlgorithmE1E18StripedToBlockedOp6__halfEvPT4_S5_.kd
    .uniform_work_group_size: 1
    .uses_dynamic_stack: false
    .vgpr_count:     19
    .vgpr_spill_count: 0
    .wavefront_size: 64
  - .agpr_count:     0
    .args:
      - .address_space:  global
        .offset:         0
        .size:           8
        .value_kind:     global_buffer
      - .address_space:  global
        .offset:         8
        .size:           8
        .value_kind:     global_buffer
    .group_segment_fixed_size: 0
    .kernarg_segment_align: 8
    .kernarg_segment_size: 16
    .language:       OpenCL C
    .language_version:
      - 2
      - 0
    .max_flat_workgroup_size: 1024
    .name:           _Z20warp_exchange_kernelILj1024ELj1ELj64ELN6hipcub21WarpExchangeAlgorithmE1E18StripedToBlockedOp6__halfEvPT4_S5_
    .private_segment_fixed_size: 0
    .sgpr_count:     10
    .sgpr_spill_count: 0
    .symbol:         _Z20warp_exchange_kernelILj1024ELj1ELj64ELN6hipcub21WarpExchangeAlgorithmE1E18StripedToBlockedOp6__halfEvPT4_S5_.kd
    .uniform_work_group_size: 1
    .uses_dynamic_stack: false
    .vgpr_count:     3
    .vgpr_spill_count: 0
    .wavefront_size: 64
  - .agpr_count:     0
    .args:
      - .address_space:  global
        .offset:         0
        .size:           8
        .value_kind:     global_buffer
      - .address_space:  global
        .offset:         8
        .size:           8
        .value_kind:     global_buffer
    .group_segment_fixed_size: 0
    .kernarg_segment_align: 8
    .kernarg_segment_size: 16
    .language:       OpenCL C
    .language_version:
      - 2
      - 0
    .max_flat_workgroup_size: 1024
    .name:           _Z20warp_exchange_kernelILj1024ELj4ELj32ELN6hipcub21WarpExchangeAlgorithmE1E18StripedToBlockedOp6__halfEvPT4_S5_
    .private_segment_fixed_size: 0
    .sgpr_count:     10
    .sgpr_spill_count: 0
    .symbol:         _Z20warp_exchange_kernelILj1024ELj4ELj32ELN6hipcub21WarpExchangeAlgorithmE1E18StripedToBlockedOp6__halfEvPT4_S5_.kd
    .uniform_work_group_size: 1
    .uses_dynamic_stack: false
    .vgpr_count:     19
    .vgpr_spill_count: 0
    .wavefront_size: 64
  - .agpr_count:     0
    .args:
      - .address_space:  global
        .offset:         0
        .size:           8
        .value_kind:     global_buffer
      - .address_space:  global
        .offset:         8
        .size:           8
        .value_kind:     global_buffer
    .group_segment_fixed_size: 0
    .kernarg_segment_align: 8
    .kernarg_segment_size: 16
    .language:       OpenCL C
    .language_version:
      - 2
      - 0
    .max_flat_workgroup_size: 1024
    .name:           _Z20warp_exchange_kernelILj1024ELj1ELj32ELN6hipcub21WarpExchangeAlgorithmE1E18StripedToBlockedOp6__halfEvPT4_S5_
    .private_segment_fixed_size: 0
    .sgpr_count:     10
    .sgpr_spill_count: 0
    .symbol:         _Z20warp_exchange_kernelILj1024ELj1ELj32ELN6hipcub21WarpExchangeAlgorithmE1E18StripedToBlockedOp6__halfEvPT4_S5_.kd
    .uniform_work_group_size: 1
    .uses_dynamic_stack: false
    .vgpr_count:     3
    .vgpr_spill_count: 0
    .wavefront_size: 64
  - .agpr_count:     0
    .args:
      - .address_space:  global
        .offset:         0
        .size:           8
        .value_kind:     global_buffer
      - .address_space:  global
        .offset:         8
        .size:           8
        .value_kind:     global_buffer
    .group_segment_fixed_size: 0
    .kernarg_segment_align: 8
    .kernarg_segment_size: 16
    .language:       OpenCL C
    .language_version:
      - 2
      - 0
    .max_flat_workgroup_size: 1024
    .name:           _Z20warp_exchange_kernelILj1024ELj4ELj16ELN6hipcub21WarpExchangeAlgorithmE1E18StripedToBlockedOp6__halfEvPT4_S5_
    .private_segment_fixed_size: 0
    .sgpr_count:     10
    .sgpr_spill_count: 0
    .symbol:         _Z20warp_exchange_kernelILj1024ELj4ELj16ELN6hipcub21WarpExchangeAlgorithmE1E18StripedToBlockedOp6__halfEvPT4_S5_.kd
    .uniform_work_group_size: 1
    .uses_dynamic_stack: false
    .vgpr_count:     19
    .vgpr_spill_count: 0
    .wavefront_size: 64
  - .agpr_count:     0
    .args:
      - .address_space:  global
        .offset:         0
        .size:           8
        .value_kind:     global_buffer
      - .address_space:  global
        .offset:         8
        .size:           8
        .value_kind:     global_buffer
    .group_segment_fixed_size: 0
    .kernarg_segment_align: 8
    .kernarg_segment_size: 16
    .language:       OpenCL C
    .language_version:
      - 2
      - 0
    .max_flat_workgroup_size: 1024
    .name:           _Z20warp_exchange_kernelILj1024ELj1ELj16ELN6hipcub21WarpExchangeAlgorithmE1E18StripedToBlockedOp6__halfEvPT4_S5_
    .private_segment_fixed_size: 0
    .sgpr_count:     10
    .sgpr_spill_count: 0
    .symbol:         _Z20warp_exchange_kernelILj1024ELj1ELj16ELN6hipcub21WarpExchangeAlgorithmE1E18StripedToBlockedOp6__halfEvPT4_S5_.kd
    .uniform_work_group_size: 1
    .uses_dynamic_stack: false
    .vgpr_count:     3
    .vgpr_spill_count: 0
    .wavefront_size: 64
  - .agpr_count:     0
    .args:
      - .address_space:  global
        .offset:         0
        .size:           8
        .value_kind:     global_buffer
      - .address_space:  global
        .offset:         8
        .size:           8
        .value_kind:     global_buffer
    .group_segment_fixed_size: 0
    .kernarg_segment_align: 8
    .kernarg_segment_size: 16
    .language:       OpenCL C
    .language_version:
      - 2
      - 0
    .max_flat_workgroup_size: 1024
    .name:           _Z20warp_exchange_kernelILj1024ELj4ELj8ELN6hipcub21WarpExchangeAlgorithmE1E18StripedToBlockedOp6__halfEvPT4_S5_
    .private_segment_fixed_size: 0
    .sgpr_count:     10
    .sgpr_spill_count: 0
    .symbol:         _Z20warp_exchange_kernelILj1024ELj4ELj8ELN6hipcub21WarpExchangeAlgorithmE1E18StripedToBlockedOp6__halfEvPT4_S5_.kd
    .uniform_work_group_size: 1
    .uses_dynamic_stack: false
    .vgpr_count:     19
    .vgpr_spill_count: 0
    .wavefront_size: 64
  - .agpr_count:     0
    .args:
      - .address_space:  global
        .offset:         0
        .size:           8
        .value_kind:     global_buffer
      - .address_space:  global
        .offset:         8
        .size:           8
        .value_kind:     global_buffer
    .group_segment_fixed_size: 0
    .kernarg_segment_align: 8
    .kernarg_segment_size: 16
    .language:       OpenCL C
    .language_version:
      - 2
      - 0
    .max_flat_workgroup_size: 1024
    .name:           _Z20warp_exchange_kernelILj1024ELj1ELj8ELN6hipcub21WarpExchangeAlgorithmE1E18StripedToBlockedOp6__halfEvPT4_S5_
    .private_segment_fixed_size: 0
    .sgpr_count:     10
    .sgpr_spill_count: 0
    .symbol:         _Z20warp_exchange_kernelILj1024ELj1ELj8ELN6hipcub21WarpExchangeAlgorithmE1E18StripedToBlockedOp6__halfEvPT4_S5_.kd
    .uniform_work_group_size: 1
    .uses_dynamic_stack: false
    .vgpr_count:     3
    .vgpr_spill_count: 0
    .wavefront_size: 64
  - .agpr_count:     0
    .args:
      - .address_space:  global
        .offset:         0
        .size:           8
        .value_kind:     global_buffer
      - .address_space:  global
        .offset:         8
        .size:           8
        .value_kind:     global_buffer
    .group_segment_fixed_size: 0
    .kernarg_segment_align: 8
    .kernarg_segment_size: 16
    .language:       OpenCL C
    .language_version:
      - 2
      - 0
    .max_flat_workgroup_size: 1024
    .name:           _Z20warp_exchange_kernelILj1024ELj4ELj64ELN6hipcub21WarpExchangeAlgorithmE1E18StripedToBlockedOpdEvPT4_S4_
    .private_segment_fixed_size: 0
    .sgpr_count:     10
    .sgpr_spill_count: 0
    .symbol:         _Z20warp_exchange_kernelILj1024ELj4ELj64ELN6hipcub21WarpExchangeAlgorithmE1E18StripedToBlockedOpdEvPT4_S4_.kd
    .uniform_work_group_size: 1
    .uses_dynamic_stack: false
    .vgpr_count:     35
    .vgpr_spill_count: 0
    .wavefront_size: 64
  - .agpr_count:     0
    .args:
      - .address_space:  global
        .offset:         0
        .size:           8
        .value_kind:     global_buffer
      - .address_space:  global
        .offset:         8
        .size:           8
        .value_kind:     global_buffer
    .group_segment_fixed_size: 0
    .kernarg_segment_align: 8
    .kernarg_segment_size: 16
    .language:       OpenCL C
    .language_version:
      - 2
      - 0
    .max_flat_workgroup_size: 1024
    .name:           _Z20warp_exchange_kernelILj1024ELj1ELj64ELN6hipcub21WarpExchangeAlgorithmE1E18StripedToBlockedOpdEvPT4_S4_
    .private_segment_fixed_size: 0
    .sgpr_count:     10
    .sgpr_spill_count: 0
    .symbol:         _Z20warp_exchange_kernelILj1024ELj1ELj64ELN6hipcub21WarpExchangeAlgorithmE1E18StripedToBlockedOpdEvPT4_S4_.kd
    .uniform_work_group_size: 1
    .uses_dynamic_stack: false
    .vgpr_count:     4
    .vgpr_spill_count: 0
    .wavefront_size: 64
  - .agpr_count:     0
    .args:
      - .address_space:  global
        .offset:         0
        .size:           8
        .value_kind:     global_buffer
      - .address_space:  global
        .offset:         8
        .size:           8
        .value_kind:     global_buffer
    .group_segment_fixed_size: 0
    .kernarg_segment_align: 8
    .kernarg_segment_size: 16
    .language:       OpenCL C
    .language_version:
      - 2
      - 0
    .max_flat_workgroup_size: 1024
    .name:           _Z20warp_exchange_kernelILj1024ELj4ELj32ELN6hipcub21WarpExchangeAlgorithmE1E18StripedToBlockedOpdEvPT4_S4_
    .private_segment_fixed_size: 0
    .sgpr_count:     10
    .sgpr_spill_count: 0
    .symbol:         _Z20warp_exchange_kernelILj1024ELj4ELj32ELN6hipcub21WarpExchangeAlgorithmE1E18StripedToBlockedOpdEvPT4_S4_.kd
    .uniform_work_group_size: 1
    .uses_dynamic_stack: false
    .vgpr_count:     35
    .vgpr_spill_count: 0
    .wavefront_size: 64
  - .agpr_count:     0
    .args:
      - .address_space:  global
        .offset:         0
        .size:           8
        .value_kind:     global_buffer
      - .address_space:  global
        .offset:         8
        .size:           8
        .value_kind:     global_buffer
    .group_segment_fixed_size: 0
    .kernarg_segment_align: 8
    .kernarg_segment_size: 16
    .language:       OpenCL C
    .language_version:
      - 2
      - 0
    .max_flat_workgroup_size: 1024
    .name:           _Z20warp_exchange_kernelILj1024ELj1ELj32ELN6hipcub21WarpExchangeAlgorithmE1E18StripedToBlockedOpdEvPT4_S4_
    .private_segment_fixed_size: 0
    .sgpr_count:     10
    .sgpr_spill_count: 0
    .symbol:         _Z20warp_exchange_kernelILj1024ELj1ELj32ELN6hipcub21WarpExchangeAlgorithmE1E18StripedToBlockedOpdEvPT4_S4_.kd
    .uniform_work_group_size: 1
    .uses_dynamic_stack: false
    .vgpr_count:     4
    .vgpr_spill_count: 0
    .wavefront_size: 64
  - .agpr_count:     0
    .args:
      - .address_space:  global
        .offset:         0
        .size:           8
        .value_kind:     global_buffer
      - .address_space:  global
        .offset:         8
        .size:           8
        .value_kind:     global_buffer
    .group_segment_fixed_size: 0
    .kernarg_segment_align: 8
    .kernarg_segment_size: 16
    .language:       OpenCL C
    .language_version:
      - 2
      - 0
    .max_flat_workgroup_size: 1024
    .name:           _Z20warp_exchange_kernelILj1024ELj4ELj16ELN6hipcub21WarpExchangeAlgorithmE1E18StripedToBlockedOpdEvPT4_S4_
    .private_segment_fixed_size: 0
    .sgpr_count:     10
    .sgpr_spill_count: 0
    .symbol:         _Z20warp_exchange_kernelILj1024ELj4ELj16ELN6hipcub21WarpExchangeAlgorithmE1E18StripedToBlockedOpdEvPT4_S4_.kd
    .uniform_work_group_size: 1
    .uses_dynamic_stack: false
    .vgpr_count:     35
    .vgpr_spill_count: 0
    .wavefront_size: 64
  - .agpr_count:     0
    .args:
      - .address_space:  global
        .offset:         0
        .size:           8
        .value_kind:     global_buffer
      - .address_space:  global
        .offset:         8
        .size:           8
        .value_kind:     global_buffer
    .group_segment_fixed_size: 0
    .kernarg_segment_align: 8
    .kernarg_segment_size: 16
    .language:       OpenCL C
    .language_version:
      - 2
      - 0
    .max_flat_workgroup_size: 1024
    .name:           _Z20warp_exchange_kernelILj1024ELj1ELj16ELN6hipcub21WarpExchangeAlgorithmE1E18StripedToBlockedOpdEvPT4_S4_
    .private_segment_fixed_size: 0
    .sgpr_count:     10
    .sgpr_spill_count: 0
    .symbol:         _Z20warp_exchange_kernelILj1024ELj1ELj16ELN6hipcub21WarpExchangeAlgorithmE1E18StripedToBlockedOpdEvPT4_S4_.kd
    .uniform_work_group_size: 1
    .uses_dynamic_stack: false
    .vgpr_count:     4
    .vgpr_spill_count: 0
    .wavefront_size: 64
  - .agpr_count:     0
    .args:
      - .address_space:  global
        .offset:         0
        .size:           8
        .value_kind:     global_buffer
      - .address_space:  global
        .offset:         8
        .size:           8
        .value_kind:     global_buffer
    .group_segment_fixed_size: 0
    .kernarg_segment_align: 8
    .kernarg_segment_size: 16
    .language:       OpenCL C
    .language_version:
      - 2
      - 0
    .max_flat_workgroup_size: 1024
    .name:           _Z20warp_exchange_kernelILj1024ELj4ELj8ELN6hipcub21WarpExchangeAlgorithmE1E18StripedToBlockedOpdEvPT4_S4_
    .private_segment_fixed_size: 0
    .sgpr_count:     10
    .sgpr_spill_count: 0
    .symbol:         _Z20warp_exchange_kernelILj1024ELj4ELj8ELN6hipcub21WarpExchangeAlgorithmE1E18StripedToBlockedOpdEvPT4_S4_.kd
    .uniform_work_group_size: 1
    .uses_dynamic_stack: false
    .vgpr_count:     35
    .vgpr_spill_count: 0
    .wavefront_size: 64
  - .agpr_count:     0
    .args:
      - .address_space:  global
        .offset:         0
        .size:           8
        .value_kind:     global_buffer
      - .address_space:  global
        .offset:         8
        .size:           8
        .value_kind:     global_buffer
    .group_segment_fixed_size: 0
    .kernarg_segment_align: 8
    .kernarg_segment_size: 16
    .language:       OpenCL C
    .language_version:
      - 2
      - 0
    .max_flat_workgroup_size: 1024
    .name:           _Z20warp_exchange_kernelILj1024ELj1ELj8ELN6hipcub21WarpExchangeAlgorithmE1E18StripedToBlockedOpdEvPT4_S4_
    .private_segment_fixed_size: 0
    .sgpr_count:     10
    .sgpr_spill_count: 0
    .symbol:         _Z20warp_exchange_kernelILj1024ELj1ELj8ELN6hipcub21WarpExchangeAlgorithmE1E18StripedToBlockedOpdEvPT4_S4_.kd
    .uniform_work_group_size: 1
    .uses_dynamic_stack: false
    .vgpr_count:     4
    .vgpr_spill_count: 0
    .wavefront_size: 64
  - .agpr_count:     0
    .args:
      - .address_space:  global
        .offset:         0
        .size:           8
        .value_kind:     global_buffer
      - .address_space:  global
        .offset:         8
        .size:           8
        .value_kind:     global_buffer
    .group_segment_fixed_size: 0
    .kernarg_segment_align: 8
    .kernarg_segment_size: 16
    .language:       OpenCL C
    .language_version:
      - 2
      - 0
    .max_flat_workgroup_size: 1024
    .name:           _Z20warp_exchange_kernelILj1024ELj4ELj64ELN6hipcub21WarpExchangeAlgorithmE1E18StripedToBlockedOpiEvPT4_S4_
    .private_segment_fixed_size: 0
    .sgpr_count:     10
    .sgpr_spill_count: 0
    .symbol:         _Z20warp_exchange_kernelILj1024ELj4ELj64ELN6hipcub21WarpExchangeAlgorithmE1E18StripedToBlockedOpiEvPT4_S4_.kd
    .uniform_work_group_size: 1
    .uses_dynamic_stack: false
    .vgpr_count:     19
    .vgpr_spill_count: 0
    .wavefront_size: 64
  - .agpr_count:     0
    .args:
      - .address_space:  global
        .offset:         0
        .size:           8
        .value_kind:     global_buffer
      - .address_space:  global
        .offset:         8
        .size:           8
        .value_kind:     global_buffer
    .group_segment_fixed_size: 0
    .kernarg_segment_align: 8
    .kernarg_segment_size: 16
    .language:       OpenCL C
    .language_version:
      - 2
      - 0
    .max_flat_workgroup_size: 1024
    .name:           _Z20warp_exchange_kernelILj1024ELj1ELj64ELN6hipcub21WarpExchangeAlgorithmE1E18StripedToBlockedOpiEvPT4_S4_
    .private_segment_fixed_size: 0
    .sgpr_count:     10
    .sgpr_spill_count: 0
    .symbol:         _Z20warp_exchange_kernelILj1024ELj1ELj64ELN6hipcub21WarpExchangeAlgorithmE1E18StripedToBlockedOpiEvPT4_S4_.kd
    .uniform_work_group_size: 1
    .uses_dynamic_stack: false
    .vgpr_count:     3
    .vgpr_spill_count: 0
    .wavefront_size: 64
  - .agpr_count:     0
    .args:
      - .address_space:  global
        .offset:         0
        .size:           8
        .value_kind:     global_buffer
      - .address_space:  global
        .offset:         8
        .size:           8
        .value_kind:     global_buffer
    .group_segment_fixed_size: 0
    .kernarg_segment_align: 8
    .kernarg_segment_size: 16
    .language:       OpenCL C
    .language_version:
      - 2
      - 0
    .max_flat_workgroup_size: 1024
    .name:           _Z20warp_exchange_kernelILj1024ELj4ELj32ELN6hipcub21WarpExchangeAlgorithmE1E18StripedToBlockedOpiEvPT4_S4_
    .private_segment_fixed_size: 0
    .sgpr_count:     10
    .sgpr_spill_count: 0
    .symbol:         _Z20warp_exchange_kernelILj1024ELj4ELj32ELN6hipcub21WarpExchangeAlgorithmE1E18StripedToBlockedOpiEvPT4_S4_.kd
    .uniform_work_group_size: 1
    .uses_dynamic_stack: false
    .vgpr_count:     19
    .vgpr_spill_count: 0
    .wavefront_size: 64
  - .agpr_count:     0
    .args:
      - .address_space:  global
        .offset:         0
        .size:           8
        .value_kind:     global_buffer
      - .address_space:  global
        .offset:         8
        .size:           8
        .value_kind:     global_buffer
    .group_segment_fixed_size: 0
    .kernarg_segment_align: 8
    .kernarg_segment_size: 16
    .language:       OpenCL C
    .language_version:
      - 2
      - 0
    .max_flat_workgroup_size: 1024
    .name:           _Z20warp_exchange_kernelILj1024ELj1ELj32ELN6hipcub21WarpExchangeAlgorithmE1E18StripedToBlockedOpiEvPT4_S4_
    .private_segment_fixed_size: 0
    .sgpr_count:     10
    .sgpr_spill_count: 0
    .symbol:         _Z20warp_exchange_kernelILj1024ELj1ELj32ELN6hipcub21WarpExchangeAlgorithmE1E18StripedToBlockedOpiEvPT4_S4_.kd
    .uniform_work_group_size: 1
    .uses_dynamic_stack: false
    .vgpr_count:     3
    .vgpr_spill_count: 0
    .wavefront_size: 64
  - .agpr_count:     0
    .args:
      - .address_space:  global
        .offset:         0
        .size:           8
        .value_kind:     global_buffer
      - .address_space:  global
        .offset:         8
        .size:           8
        .value_kind:     global_buffer
    .group_segment_fixed_size: 0
    .kernarg_segment_align: 8
    .kernarg_segment_size: 16
    .language:       OpenCL C
    .language_version:
      - 2
      - 0
    .max_flat_workgroup_size: 1024
    .name:           _Z20warp_exchange_kernelILj1024ELj4ELj16ELN6hipcub21WarpExchangeAlgorithmE1E18StripedToBlockedOpiEvPT4_S4_
    .private_segment_fixed_size: 0
    .sgpr_count:     10
    .sgpr_spill_count: 0
    .symbol:         _Z20warp_exchange_kernelILj1024ELj4ELj16ELN6hipcub21WarpExchangeAlgorithmE1E18StripedToBlockedOpiEvPT4_S4_.kd
    .uniform_work_group_size: 1
    .uses_dynamic_stack: false
    .vgpr_count:     19
    .vgpr_spill_count: 0
    .wavefront_size: 64
  - .agpr_count:     0
    .args:
      - .address_space:  global
        .offset:         0
        .size:           8
        .value_kind:     global_buffer
      - .address_space:  global
        .offset:         8
        .size:           8
        .value_kind:     global_buffer
    .group_segment_fixed_size: 0
    .kernarg_segment_align: 8
    .kernarg_segment_size: 16
    .language:       OpenCL C
    .language_version:
      - 2
      - 0
    .max_flat_workgroup_size: 1024
    .name:           _Z20warp_exchange_kernelILj1024ELj1ELj16ELN6hipcub21WarpExchangeAlgorithmE1E18StripedToBlockedOpiEvPT4_S4_
    .private_segment_fixed_size: 0
    .sgpr_count:     10
    .sgpr_spill_count: 0
    .symbol:         _Z20warp_exchange_kernelILj1024ELj1ELj16ELN6hipcub21WarpExchangeAlgorithmE1E18StripedToBlockedOpiEvPT4_S4_.kd
    .uniform_work_group_size: 1
    .uses_dynamic_stack: false
    .vgpr_count:     3
    .vgpr_spill_count: 0
    .wavefront_size: 64
  - .agpr_count:     0
    .args:
      - .address_space:  global
        .offset:         0
        .size:           8
        .value_kind:     global_buffer
      - .address_space:  global
        .offset:         8
        .size:           8
        .value_kind:     global_buffer
    .group_segment_fixed_size: 0
    .kernarg_segment_align: 8
    .kernarg_segment_size: 16
    .language:       OpenCL C
    .language_version:
      - 2
      - 0
    .max_flat_workgroup_size: 1024
    .name:           _Z20warp_exchange_kernelILj1024ELj4ELj8ELN6hipcub21WarpExchangeAlgorithmE1E18StripedToBlockedOpiEvPT4_S4_
    .private_segment_fixed_size: 0
    .sgpr_count:     10
    .sgpr_spill_count: 0
    .symbol:         _Z20warp_exchange_kernelILj1024ELj4ELj8ELN6hipcub21WarpExchangeAlgorithmE1E18StripedToBlockedOpiEvPT4_S4_.kd
    .uniform_work_group_size: 1
    .uses_dynamic_stack: false
    .vgpr_count:     19
    .vgpr_spill_count: 0
    .wavefront_size: 64
  - .agpr_count:     0
    .args:
      - .address_space:  global
        .offset:         0
        .size:           8
        .value_kind:     global_buffer
      - .address_space:  global
        .offset:         8
        .size:           8
        .value_kind:     global_buffer
    .group_segment_fixed_size: 0
    .kernarg_segment_align: 8
    .kernarg_segment_size: 16
    .language:       OpenCL C
    .language_version:
      - 2
      - 0
    .max_flat_workgroup_size: 1024
    .name:           _Z20warp_exchange_kernelILj1024ELj1ELj8ELN6hipcub21WarpExchangeAlgorithmE1E18StripedToBlockedOpiEvPT4_S4_
    .private_segment_fixed_size: 0
    .sgpr_count:     10
    .sgpr_spill_count: 0
    .symbol:         _Z20warp_exchange_kernelILj1024ELj1ELj8ELN6hipcub21WarpExchangeAlgorithmE1E18StripedToBlockedOpiEvPT4_S4_.kd
    .uniform_work_group_size: 1
    .uses_dynamic_stack: false
    .vgpr_count:     3
    .vgpr_spill_count: 0
    .wavefront_size: 64
  - .agpr_count:     0
    .args:
      - .address_space:  global
        .offset:         0
        .size:           8
        .value_kind:     global_buffer
      - .address_space:  global
        .offset:         8
        .size:           8
        .value_kind:     global_buffer
    .group_segment_fixed_size: 0
    .kernarg_segment_align: 8
    .kernarg_segment_size: 16
    .language:       OpenCL C
    .language_version:
      - 2
      - 0
    .max_flat_workgroup_size: 1024
    .name:           _Z20warp_exchange_kernelILj1024ELj4ELj64ELN6hipcub21WarpExchangeAlgorithmE1E18StripedToBlockedOpcEvPT4_S4_
    .private_segment_fixed_size: 0
    .sgpr_count:     16
    .sgpr_spill_count: 0
    .symbol:         _Z20warp_exchange_kernelILj1024ELj4ELj64ELN6hipcub21WarpExchangeAlgorithmE1E18StripedToBlockedOpcEvPT4_S4_.kd
    .uniform_work_group_size: 1
    .uses_dynamic_stack: false
    .vgpr_count:     20
    .vgpr_spill_count: 0
    .wavefront_size: 64
  - .agpr_count:     0
    .args:
      - .address_space:  global
        .offset:         0
        .size:           8
        .value_kind:     global_buffer
      - .address_space:  global
        .offset:         8
        .size:           8
        .value_kind:     global_buffer
    .group_segment_fixed_size: 0
    .kernarg_segment_align: 8
    .kernarg_segment_size: 16
    .language:       OpenCL C
    .language_version:
      - 2
      - 0
    .max_flat_workgroup_size: 1024
    .name:           _Z20warp_exchange_kernelILj1024ELj1ELj64ELN6hipcub21WarpExchangeAlgorithmE1E18StripedToBlockedOpcEvPT4_S4_
    .private_segment_fixed_size: 0
    .sgpr_count:     10
    .sgpr_spill_count: 0
    .symbol:         _Z20warp_exchange_kernelILj1024ELj1ELj64ELN6hipcub21WarpExchangeAlgorithmE1E18StripedToBlockedOpcEvPT4_S4_.kd
    .uniform_work_group_size: 1
    .uses_dynamic_stack: false
    .vgpr_count:     3
    .vgpr_spill_count: 0
    .wavefront_size: 64
  - .agpr_count:     0
    .args:
      - .address_space:  global
        .offset:         0
        .size:           8
        .value_kind:     global_buffer
      - .address_space:  global
        .offset:         8
        .size:           8
        .value_kind:     global_buffer
    .group_segment_fixed_size: 0
    .kernarg_segment_align: 8
    .kernarg_segment_size: 16
    .language:       OpenCL C
    .language_version:
      - 2
      - 0
    .max_flat_workgroup_size: 1024
    .name:           _Z20warp_exchange_kernelILj1024ELj4ELj32ELN6hipcub21WarpExchangeAlgorithmE1E18StripedToBlockedOpcEvPT4_S4_
    .private_segment_fixed_size: 0
    .sgpr_count:     16
    .sgpr_spill_count: 0
    .symbol:         _Z20warp_exchange_kernelILj1024ELj4ELj32ELN6hipcub21WarpExchangeAlgorithmE1E18StripedToBlockedOpcEvPT4_S4_.kd
    .uniform_work_group_size: 1
    .uses_dynamic_stack: false
    .vgpr_count:     20
    .vgpr_spill_count: 0
    .wavefront_size: 64
  - .agpr_count:     0
    .args:
      - .address_space:  global
        .offset:         0
        .size:           8
        .value_kind:     global_buffer
      - .address_space:  global
        .offset:         8
        .size:           8
        .value_kind:     global_buffer
    .group_segment_fixed_size: 0
    .kernarg_segment_align: 8
    .kernarg_segment_size: 16
    .language:       OpenCL C
    .language_version:
      - 2
      - 0
    .max_flat_workgroup_size: 1024
    .name:           _Z20warp_exchange_kernelILj1024ELj1ELj32ELN6hipcub21WarpExchangeAlgorithmE1E18StripedToBlockedOpcEvPT4_S4_
    .private_segment_fixed_size: 0
    .sgpr_count:     10
    .sgpr_spill_count: 0
    .symbol:         _Z20warp_exchange_kernelILj1024ELj1ELj32ELN6hipcub21WarpExchangeAlgorithmE1E18StripedToBlockedOpcEvPT4_S4_.kd
    .uniform_work_group_size: 1
    .uses_dynamic_stack: false
    .vgpr_count:     3
    .vgpr_spill_count: 0
    .wavefront_size: 64
  - .agpr_count:     0
    .args:
      - .address_space:  global
        .offset:         0
        .size:           8
        .value_kind:     global_buffer
      - .address_space:  global
        .offset:         8
        .size:           8
        .value_kind:     global_buffer
    .group_segment_fixed_size: 0
    .kernarg_segment_align: 8
    .kernarg_segment_size: 16
    .language:       OpenCL C
    .language_version:
      - 2
      - 0
    .max_flat_workgroup_size: 1024
    .name:           _Z20warp_exchange_kernelILj1024ELj4ELj16ELN6hipcub21WarpExchangeAlgorithmE1E18StripedToBlockedOpcEvPT4_S4_
    .private_segment_fixed_size: 0
    .sgpr_count:     16
    .sgpr_spill_count: 0
    .symbol:         _Z20warp_exchange_kernelILj1024ELj4ELj16ELN6hipcub21WarpExchangeAlgorithmE1E18StripedToBlockedOpcEvPT4_S4_.kd
    .uniform_work_group_size: 1
    .uses_dynamic_stack: false
    .vgpr_count:     20
    .vgpr_spill_count: 0
    .wavefront_size: 64
  - .agpr_count:     0
    .args:
      - .address_space:  global
        .offset:         0
        .size:           8
        .value_kind:     global_buffer
      - .address_space:  global
        .offset:         8
        .size:           8
        .value_kind:     global_buffer
    .group_segment_fixed_size: 0
    .kernarg_segment_align: 8
    .kernarg_segment_size: 16
    .language:       OpenCL C
    .language_version:
      - 2
      - 0
    .max_flat_workgroup_size: 1024
    .name:           _Z20warp_exchange_kernelILj1024ELj1ELj16ELN6hipcub21WarpExchangeAlgorithmE1E18StripedToBlockedOpcEvPT4_S4_
    .private_segment_fixed_size: 0
    .sgpr_count:     10
    .sgpr_spill_count: 0
    .symbol:         _Z20warp_exchange_kernelILj1024ELj1ELj16ELN6hipcub21WarpExchangeAlgorithmE1E18StripedToBlockedOpcEvPT4_S4_.kd
    .uniform_work_group_size: 1
    .uses_dynamic_stack: false
    .vgpr_count:     3
    .vgpr_spill_count: 0
    .wavefront_size: 64
  - .agpr_count:     0
    .args:
      - .address_space:  global
        .offset:         0
        .size:           8
        .value_kind:     global_buffer
      - .address_space:  global
        .offset:         8
        .size:           8
        .value_kind:     global_buffer
    .group_segment_fixed_size: 0
    .kernarg_segment_align: 8
    .kernarg_segment_size: 16
    .language:       OpenCL C
    .language_version:
      - 2
      - 0
    .max_flat_workgroup_size: 1024
    .name:           _Z20warp_exchange_kernelILj1024ELj4ELj8ELN6hipcub21WarpExchangeAlgorithmE1E18StripedToBlockedOpcEvPT4_S4_
    .private_segment_fixed_size: 0
    .sgpr_count:     16
    .sgpr_spill_count: 0
    .symbol:         _Z20warp_exchange_kernelILj1024ELj4ELj8ELN6hipcub21WarpExchangeAlgorithmE1E18StripedToBlockedOpcEvPT4_S4_.kd
    .uniform_work_group_size: 1
    .uses_dynamic_stack: false
    .vgpr_count:     20
    .vgpr_spill_count: 0
    .wavefront_size: 64
  - .agpr_count:     0
    .args:
      - .address_space:  global
        .offset:         0
        .size:           8
        .value_kind:     global_buffer
      - .address_space:  global
        .offset:         8
        .size:           8
        .value_kind:     global_buffer
    .group_segment_fixed_size: 0
    .kernarg_segment_align: 8
    .kernarg_segment_size: 16
    .language:       OpenCL C
    .language_version:
      - 2
      - 0
    .max_flat_workgroup_size: 1024
    .name:           _Z20warp_exchange_kernelILj1024ELj1ELj8ELN6hipcub21WarpExchangeAlgorithmE1E18StripedToBlockedOpcEvPT4_S4_
    .private_segment_fixed_size: 0
    .sgpr_count:     10
    .sgpr_spill_count: 0
    .symbol:         _Z20warp_exchange_kernelILj1024ELj1ELj8ELN6hipcub21WarpExchangeAlgorithmE1E18StripedToBlockedOpcEvPT4_S4_.kd
    .uniform_work_group_size: 1
    .uses_dynamic_stack: false
    .vgpr_count:     3
    .vgpr_spill_count: 0
    .wavefront_size: 64
  - .agpr_count:     0
    .args:
      - .address_space:  global
        .offset:         0
        .size:           8
        .value_kind:     global_buffer
      - .address_space:  global
        .offset:         8
        .size:           8
        .value_kind:     global_buffer
    .group_segment_fixed_size: 10240
    .kernarg_segment_align: 8
    .kernarg_segment_size: 16
    .language:       OpenCL C
    .language_version:
      - 2
      - 0
    .max_flat_workgroup_size: 1024
    .name:           _Z20warp_exchange_kernelILj1024ELj5ELj64ELN6hipcub21WarpExchangeAlgorithmE0E18BlockedToStripedOp6__halfEvPT4_S5_
    .private_segment_fixed_size: 0
    .sgpr_count:     10
    .sgpr_spill_count: 0
    .symbol:         _Z20warp_exchange_kernelILj1024ELj5ELj64ELN6hipcub21WarpExchangeAlgorithmE0E18BlockedToStripedOp6__halfEvPT4_S5_.kd
    .uniform_work_group_size: 1
    .uses_dynamic_stack: false
    .vgpr_count:     7
    .vgpr_spill_count: 0
    .wavefront_size: 64
  - .agpr_count:     0
    .args:
      - .address_space:  global
        .offset:         0
        .size:           8
        .value_kind:     global_buffer
      - .address_space:  global
        .offset:         8
        .size:           8
        .value_kind:     global_buffer
    .group_segment_fixed_size: 8192
    .kernarg_segment_align: 8
    .kernarg_segment_size: 16
    .language:       OpenCL C
    .language_version:
      - 2
      - 0
    .max_flat_workgroup_size: 1024
    .name:           _Z20warp_exchange_kernelILj1024ELj4ELj64ELN6hipcub21WarpExchangeAlgorithmE0E18BlockedToStripedOp6__halfEvPT4_S5_
    .private_segment_fixed_size: 0
    .sgpr_count:     10
    .sgpr_spill_count: 0
    .symbol:         _Z20warp_exchange_kernelILj1024ELj4ELj64ELN6hipcub21WarpExchangeAlgorithmE0E18BlockedToStripedOp6__halfEvPT4_S5_.kd
    .uniform_work_group_size: 1
    .uses_dynamic_stack: false
    .vgpr_count:     6
    .vgpr_spill_count: 0
    .wavefront_size: 64
  - .agpr_count:     0
    .args:
      - .address_space:  global
        .offset:         0
        .size:           8
        .value_kind:     global_buffer
      - .address_space:  global
        .offset:         8
        .size:           8
        .value_kind:     global_buffer
    .group_segment_fixed_size: 2048
    .kernarg_segment_align: 8
    .kernarg_segment_size: 16
    .language:       OpenCL C
    .language_version:
      - 2
      - 0
    .max_flat_workgroup_size: 1024
    .name:           _Z20warp_exchange_kernelILj1024ELj1ELj64ELN6hipcub21WarpExchangeAlgorithmE0E18BlockedToStripedOp6__halfEvPT4_S5_
    .private_segment_fixed_size: 0
    .sgpr_count:     10
    .sgpr_spill_count: 0
    .symbol:         _Z20warp_exchange_kernelILj1024ELj1ELj64ELN6hipcub21WarpExchangeAlgorithmE0E18BlockedToStripedOp6__halfEvPT4_S5_.kd
    .uniform_work_group_size: 1
    .uses_dynamic_stack: false
    .vgpr_count:     4
    .vgpr_spill_count: 0
    .wavefront_size: 64
  - .agpr_count:     0
    .args:
      - .address_space:  global
        .offset:         0
        .size:           8
        .value_kind:     global_buffer
      - .address_space:  global
        .offset:         8
        .size:           8
        .value_kind:     global_buffer
    .group_segment_fixed_size: 10240
    .kernarg_segment_align: 8
    .kernarg_segment_size: 16
    .language:       OpenCL C
    .language_version:
      - 2
      - 0
    .max_flat_workgroup_size: 1024
    .name:           _Z20warp_exchange_kernelILj1024ELj5ELj32ELN6hipcub21WarpExchangeAlgorithmE0E18BlockedToStripedOp6__halfEvPT4_S5_
    .private_segment_fixed_size: 0
    .sgpr_count:     10
    .sgpr_spill_count: 0
    .symbol:         _Z20warp_exchange_kernelILj1024ELj5ELj32ELN6hipcub21WarpExchangeAlgorithmE0E18BlockedToStripedOp6__halfEvPT4_S5_.kd
    .uniform_work_group_size: 1
    .uses_dynamic_stack: false
    .vgpr_count:     7
    .vgpr_spill_count: 0
    .wavefront_size: 64
  - .agpr_count:     0
    .args:
      - .address_space:  global
        .offset:         0
        .size:           8
        .value_kind:     global_buffer
      - .address_space:  global
        .offset:         8
        .size:           8
        .value_kind:     global_buffer
    .group_segment_fixed_size: 8192
    .kernarg_segment_align: 8
    .kernarg_segment_size: 16
    .language:       OpenCL C
    .language_version:
      - 2
      - 0
    .max_flat_workgroup_size: 1024
    .name:           _Z20warp_exchange_kernelILj1024ELj4ELj32ELN6hipcub21WarpExchangeAlgorithmE0E18BlockedToStripedOp6__halfEvPT4_S5_
    .private_segment_fixed_size: 0
    .sgpr_count:     10
    .sgpr_spill_count: 0
    .symbol:         _Z20warp_exchange_kernelILj1024ELj4ELj32ELN6hipcub21WarpExchangeAlgorithmE0E18BlockedToStripedOp6__halfEvPT4_S5_.kd
    .uniform_work_group_size: 1
    .uses_dynamic_stack: false
    .vgpr_count:     5
    .vgpr_spill_count: 0
    .wavefront_size: 64
  - .agpr_count:     0
    .args:
      - .address_space:  global
        .offset:         0
        .size:           8
        .value_kind:     global_buffer
      - .address_space:  global
        .offset:         8
        .size:           8
        .value_kind:     global_buffer
    .group_segment_fixed_size: 2048
    .kernarg_segment_align: 8
    .kernarg_segment_size: 16
    .language:       OpenCL C
    .language_version:
      - 2
      - 0
    .max_flat_workgroup_size: 1024
    .name:           _Z20warp_exchange_kernelILj1024ELj1ELj32ELN6hipcub21WarpExchangeAlgorithmE0E18BlockedToStripedOp6__halfEvPT4_S5_
    .private_segment_fixed_size: 0
    .sgpr_count:     10
    .sgpr_spill_count: 0
    .symbol:         _Z20warp_exchange_kernelILj1024ELj1ELj32ELN6hipcub21WarpExchangeAlgorithmE0E18BlockedToStripedOp6__halfEvPT4_S5_.kd
    .uniform_work_group_size: 1
    .uses_dynamic_stack: false
    .vgpr_count:     3
    .vgpr_spill_count: 0
    .wavefront_size: 64
  - .agpr_count:     0
    .args:
      - .address_space:  global
        .offset:         0
        .size:           8
        .value_kind:     global_buffer
      - .address_space:  global
        .offset:         8
        .size:           8
        .value_kind:     global_buffer
    .group_segment_fixed_size: 10240
    .kernarg_segment_align: 8
    .kernarg_segment_size: 16
    .language:       OpenCL C
    .language_version:
      - 2
      - 0
    .max_flat_workgroup_size: 1024
    .name:           _Z20warp_exchange_kernelILj1024ELj5ELj16ELN6hipcub21WarpExchangeAlgorithmE0E18BlockedToStripedOp6__halfEvPT4_S5_
    .private_segment_fixed_size: 0
    .sgpr_count:     10
    .sgpr_spill_count: 0
    .symbol:         _Z20warp_exchange_kernelILj1024ELj5ELj16ELN6hipcub21WarpExchangeAlgorithmE0E18BlockedToStripedOp6__halfEvPT4_S5_.kd
    .uniform_work_group_size: 1
    .uses_dynamic_stack: false
    .vgpr_count:     7
    .vgpr_spill_count: 0
    .wavefront_size: 64
  - .agpr_count:     0
    .args:
      - .address_space:  global
        .offset:         0
        .size:           8
        .value_kind:     global_buffer
      - .address_space:  global
        .offset:         8
        .size:           8
        .value_kind:     global_buffer
    .group_segment_fixed_size: 8192
    .kernarg_segment_align: 8
    .kernarg_segment_size: 16
    .language:       OpenCL C
    .language_version:
      - 2
      - 0
    .max_flat_workgroup_size: 1024
    .name:           _Z20warp_exchange_kernelILj1024ELj4ELj16ELN6hipcub21WarpExchangeAlgorithmE0E18BlockedToStripedOp6__halfEvPT4_S5_
    .private_segment_fixed_size: 0
    .sgpr_count:     10
    .sgpr_spill_count: 0
    .symbol:         _Z20warp_exchange_kernelILj1024ELj4ELj16ELN6hipcub21WarpExchangeAlgorithmE0E18BlockedToStripedOp6__halfEvPT4_S5_.kd
    .uniform_work_group_size: 1
    .uses_dynamic_stack: false
    .vgpr_count:     5
    .vgpr_spill_count: 0
    .wavefront_size: 64
  - .agpr_count:     0
    .args:
      - .address_space:  global
        .offset:         0
        .size:           8
        .value_kind:     global_buffer
      - .address_space:  global
        .offset:         8
        .size:           8
        .value_kind:     global_buffer
    .group_segment_fixed_size: 2048
    .kernarg_segment_align: 8
    .kernarg_segment_size: 16
    .language:       OpenCL C
    .language_version:
      - 2
      - 0
    .max_flat_workgroup_size: 1024
    .name:           _Z20warp_exchange_kernelILj1024ELj1ELj16ELN6hipcub21WarpExchangeAlgorithmE0E18BlockedToStripedOp6__halfEvPT4_S5_
    .private_segment_fixed_size: 0
    .sgpr_count:     10
    .sgpr_spill_count: 0
    .symbol:         _Z20warp_exchange_kernelILj1024ELj1ELj16ELN6hipcub21WarpExchangeAlgorithmE0E18BlockedToStripedOp6__halfEvPT4_S5_.kd
    .uniform_work_group_size: 1
    .uses_dynamic_stack: false
    .vgpr_count:     3
    .vgpr_spill_count: 0
    .wavefront_size: 64
  - .agpr_count:     0
    .args:
      - .address_space:  global
        .offset:         0
        .size:           8
        .value_kind:     global_buffer
      - .address_space:  global
        .offset:         8
        .size:           8
        .value_kind:     global_buffer
    .group_segment_fixed_size: 10240
    .kernarg_segment_align: 8
    .kernarg_segment_size: 16
    .language:       OpenCL C
    .language_version:
      - 2
      - 0
    .max_flat_workgroup_size: 1024
    .name:           _Z20warp_exchange_kernelILj1024ELj5ELj8ELN6hipcub21WarpExchangeAlgorithmE0E18BlockedToStripedOp6__halfEvPT4_S5_
    .private_segment_fixed_size: 0
    .sgpr_count:     10
    .sgpr_spill_count: 0
    .symbol:         _Z20warp_exchange_kernelILj1024ELj5ELj8ELN6hipcub21WarpExchangeAlgorithmE0E18BlockedToStripedOp6__halfEvPT4_S5_.kd
    .uniform_work_group_size: 1
    .uses_dynamic_stack: false
    .vgpr_count:     7
    .vgpr_spill_count: 0
    .wavefront_size: 64
  - .agpr_count:     0
    .args:
      - .address_space:  global
        .offset:         0
        .size:           8
        .value_kind:     global_buffer
      - .address_space:  global
        .offset:         8
        .size:           8
        .value_kind:     global_buffer
    .group_segment_fixed_size: 8192
    .kernarg_segment_align: 8
    .kernarg_segment_size: 16
    .language:       OpenCL C
    .language_version:
      - 2
      - 0
    .max_flat_workgroup_size: 1024
    .name:           _Z20warp_exchange_kernelILj1024ELj4ELj8ELN6hipcub21WarpExchangeAlgorithmE0E18BlockedToStripedOp6__halfEvPT4_S5_
    .private_segment_fixed_size: 0
    .sgpr_count:     10
    .sgpr_spill_count: 0
    .symbol:         _Z20warp_exchange_kernelILj1024ELj4ELj8ELN6hipcub21WarpExchangeAlgorithmE0E18BlockedToStripedOp6__halfEvPT4_S5_.kd
    .uniform_work_group_size: 1
    .uses_dynamic_stack: false
    .vgpr_count:     5
    .vgpr_spill_count: 0
    .wavefront_size: 64
  - .agpr_count:     0
    .args:
      - .address_space:  global
        .offset:         0
        .size:           8
        .value_kind:     global_buffer
      - .address_space:  global
        .offset:         8
        .size:           8
        .value_kind:     global_buffer
    .group_segment_fixed_size: 2048
    .kernarg_segment_align: 8
    .kernarg_segment_size: 16
    .language:       OpenCL C
    .language_version:
      - 2
      - 0
    .max_flat_workgroup_size: 1024
    .name:           _Z20warp_exchange_kernelILj1024ELj1ELj8ELN6hipcub21WarpExchangeAlgorithmE0E18BlockedToStripedOp6__halfEvPT4_S5_
    .private_segment_fixed_size: 0
    .sgpr_count:     10
    .sgpr_spill_count: 0
    .symbol:         _Z20warp_exchange_kernelILj1024ELj1ELj8ELN6hipcub21WarpExchangeAlgorithmE0E18BlockedToStripedOp6__halfEvPT4_S5_.kd
    .uniform_work_group_size: 1
    .uses_dynamic_stack: false
    .vgpr_count:     3
    .vgpr_spill_count: 0
    .wavefront_size: 64
  - .agpr_count:     0
    .args:
      - .address_space:  global
        .offset:         0
        .size:           8
        .value_kind:     global_buffer
      - .address_space:  global
        .offset:         8
        .size:           8
        .value_kind:     global_buffer
    .group_segment_fixed_size: 40960
    .kernarg_segment_align: 8
    .kernarg_segment_size: 16
    .language:       OpenCL C
    .language_version:
      - 2
      - 0
    .max_flat_workgroup_size: 1024
    .name:           _Z20warp_exchange_kernelILj1024ELj5ELj64ELN6hipcub21WarpExchangeAlgorithmE0E18BlockedToStripedOpdEvPT4_S4_
    .private_segment_fixed_size: 0
    .sgpr_count:     10
    .sgpr_spill_count: 0
    .symbol:         _Z20warp_exchange_kernelILj1024ELj5ELj64ELN6hipcub21WarpExchangeAlgorithmE0E18BlockedToStripedOpdEvPT4_S4_.kd
    .uniform_work_group_size: 1
    .uses_dynamic_stack: false
    .vgpr_count:     15
    .vgpr_spill_count: 0
    .wavefront_size: 64
  - .agpr_count:     0
    .args:
      - .address_space:  global
        .offset:         0
        .size:           8
        .value_kind:     global_buffer
      - .address_space:  global
        .offset:         8
        .size:           8
        .value_kind:     global_buffer
    .group_segment_fixed_size: 32768
    .kernarg_segment_align: 8
    .kernarg_segment_size: 16
    .language:       OpenCL C
    .language_version:
      - 2
      - 0
    .max_flat_workgroup_size: 1024
    .name:           _Z20warp_exchange_kernelILj1024ELj4ELj64ELN6hipcub21WarpExchangeAlgorithmE0E18BlockedToStripedOpdEvPT4_S4_
    .private_segment_fixed_size: 0
    .sgpr_count:     10
    .sgpr_spill_count: 0
    .symbol:         _Z20warp_exchange_kernelILj1024ELj4ELj64ELN6hipcub21WarpExchangeAlgorithmE0E18BlockedToStripedOpdEvPT4_S4_.kd
    .uniform_work_group_size: 1
    .uses_dynamic_stack: false
    .vgpr_count:     12
    .vgpr_spill_count: 0
    .wavefront_size: 64
  - .agpr_count:     0
    .args:
      - .address_space:  global
        .offset:         0
        .size:           8
        .value_kind:     global_buffer
      - .address_space:  global
        .offset:         8
        .size:           8
        .value_kind:     global_buffer
    .group_segment_fixed_size: 8192
    .kernarg_segment_align: 8
    .kernarg_segment_size: 16
    .language:       OpenCL C
    .language_version:
      - 2
      - 0
    .max_flat_workgroup_size: 1024
    .name:           _Z20warp_exchange_kernelILj1024ELj1ELj64ELN6hipcub21WarpExchangeAlgorithmE0E18BlockedToStripedOpdEvPT4_S4_
    .private_segment_fixed_size: 0
    .sgpr_count:     10
    .sgpr_spill_count: 0
    .symbol:         _Z20warp_exchange_kernelILj1024ELj1ELj64ELN6hipcub21WarpExchangeAlgorithmE0E18BlockedToStripedOpdEvPT4_S4_.kd
    .uniform_work_group_size: 1
    .uses_dynamic_stack: false
    .vgpr_count:     5
    .vgpr_spill_count: 0
    .wavefront_size: 64
  - .agpr_count:     0
    .args:
      - .address_space:  global
        .offset:         0
        .size:           8
        .value_kind:     global_buffer
      - .address_space:  global
        .offset:         8
        .size:           8
        .value_kind:     global_buffer
    .group_segment_fixed_size: 40960
    .kernarg_segment_align: 8
    .kernarg_segment_size: 16
    .language:       OpenCL C
    .language_version:
      - 2
      - 0
    .max_flat_workgroup_size: 1024
    .name:           _Z20warp_exchange_kernelILj1024ELj5ELj32ELN6hipcub21WarpExchangeAlgorithmE0E18BlockedToStripedOpdEvPT4_S4_
    .private_segment_fixed_size: 0
    .sgpr_count:     10
    .sgpr_spill_count: 0
    .symbol:         _Z20warp_exchange_kernelILj1024ELj5ELj32ELN6hipcub21WarpExchangeAlgorithmE0E18BlockedToStripedOpdEvPT4_S4_.kd
    .uniform_work_group_size: 1
    .uses_dynamic_stack: false
    .vgpr_count:     14
    .vgpr_spill_count: 0
    .wavefront_size: 64
  - .agpr_count:     0
    .args:
      - .address_space:  global
        .offset:         0
        .size:           8
        .value_kind:     global_buffer
      - .address_space:  global
        .offset:         8
        .size:           8
        .value_kind:     global_buffer
    .group_segment_fixed_size: 32768
    .kernarg_segment_align: 8
    .kernarg_segment_size: 16
    .language:       OpenCL C
    .language_version:
      - 2
      - 0
    .max_flat_workgroup_size: 1024
    .name:           _Z20warp_exchange_kernelILj1024ELj4ELj32ELN6hipcub21WarpExchangeAlgorithmE0E18BlockedToStripedOpdEvPT4_S4_
    .private_segment_fixed_size: 0
    .sgpr_count:     10
    .sgpr_spill_count: 0
    .symbol:         _Z20warp_exchange_kernelILj1024ELj4ELj32ELN6hipcub21WarpExchangeAlgorithmE0E18BlockedToStripedOpdEvPT4_S4_.kd
    .uniform_work_group_size: 1
    .uses_dynamic_stack: false
    .vgpr_count:     11
    .vgpr_spill_count: 0
    .wavefront_size: 64
  - .agpr_count:     0
    .args:
      - .address_space:  global
        .offset:         0
        .size:           8
        .value_kind:     global_buffer
      - .address_space:  global
        .offset:         8
        .size:           8
        .value_kind:     global_buffer
    .group_segment_fixed_size: 8192
    .kernarg_segment_align: 8
    .kernarg_segment_size: 16
    .language:       OpenCL C
    .language_version:
      - 2
      - 0
    .max_flat_workgroup_size: 1024
    .name:           _Z20warp_exchange_kernelILj1024ELj1ELj32ELN6hipcub21WarpExchangeAlgorithmE0E18BlockedToStripedOpdEvPT4_S4_
    .private_segment_fixed_size: 0
    .sgpr_count:     10
    .sgpr_spill_count: 0
    .symbol:         _Z20warp_exchange_kernelILj1024ELj1ELj32ELN6hipcub21WarpExchangeAlgorithmE0E18BlockedToStripedOpdEvPT4_S4_.kd
    .uniform_work_group_size: 1
    .uses_dynamic_stack: false
    .vgpr_count:     4
    .vgpr_spill_count: 0
    .wavefront_size: 64
  - .agpr_count:     0
    .args:
      - .address_space:  global
        .offset:         0
        .size:           8
        .value_kind:     global_buffer
      - .address_space:  global
        .offset:         8
        .size:           8
        .value_kind:     global_buffer
    .group_segment_fixed_size: 40960
    .kernarg_segment_align: 8
    .kernarg_segment_size: 16
    .language:       OpenCL C
    .language_version:
      - 2
      - 0
    .max_flat_workgroup_size: 1024
    .name:           _Z20warp_exchange_kernelILj1024ELj5ELj16ELN6hipcub21WarpExchangeAlgorithmE0E18BlockedToStripedOpdEvPT4_S4_
    .private_segment_fixed_size: 0
    .sgpr_count:     10
    .sgpr_spill_count: 0
    .symbol:         _Z20warp_exchange_kernelILj1024ELj5ELj16ELN6hipcub21WarpExchangeAlgorithmE0E18BlockedToStripedOpdEvPT4_S4_.kd
    .uniform_work_group_size: 1
    .uses_dynamic_stack: false
    .vgpr_count:     14
    .vgpr_spill_count: 0
    .wavefront_size: 64
  - .agpr_count:     0
    .args:
      - .address_space:  global
        .offset:         0
        .size:           8
        .value_kind:     global_buffer
      - .address_space:  global
        .offset:         8
        .size:           8
        .value_kind:     global_buffer
    .group_segment_fixed_size: 32768
    .kernarg_segment_align: 8
    .kernarg_segment_size: 16
    .language:       OpenCL C
    .language_version:
      - 2
      - 0
    .max_flat_workgroup_size: 1024
    .name:           _Z20warp_exchange_kernelILj1024ELj4ELj16ELN6hipcub21WarpExchangeAlgorithmE0E18BlockedToStripedOpdEvPT4_S4_
    .private_segment_fixed_size: 0
    .sgpr_count:     10
    .sgpr_spill_count: 0
    .symbol:         _Z20warp_exchange_kernelILj1024ELj4ELj16ELN6hipcub21WarpExchangeAlgorithmE0E18BlockedToStripedOpdEvPT4_S4_.kd
    .uniform_work_group_size: 1
    .uses_dynamic_stack: false
    .vgpr_count:     11
    .vgpr_spill_count: 0
    .wavefront_size: 64
  - .agpr_count:     0
    .args:
      - .address_space:  global
        .offset:         0
        .size:           8
        .value_kind:     global_buffer
      - .address_space:  global
        .offset:         8
        .size:           8
        .value_kind:     global_buffer
    .group_segment_fixed_size: 8192
    .kernarg_segment_align: 8
    .kernarg_segment_size: 16
    .language:       OpenCL C
    .language_version:
      - 2
      - 0
    .max_flat_workgroup_size: 1024
    .name:           _Z20warp_exchange_kernelILj1024ELj1ELj16ELN6hipcub21WarpExchangeAlgorithmE0E18BlockedToStripedOpdEvPT4_S4_
    .private_segment_fixed_size: 0
    .sgpr_count:     10
    .sgpr_spill_count: 0
    .symbol:         _Z20warp_exchange_kernelILj1024ELj1ELj16ELN6hipcub21WarpExchangeAlgorithmE0E18BlockedToStripedOpdEvPT4_S4_.kd
    .uniform_work_group_size: 1
    .uses_dynamic_stack: false
    .vgpr_count:     4
    .vgpr_spill_count: 0
    .wavefront_size: 64
  - .agpr_count:     0
    .args:
      - .address_space:  global
        .offset:         0
        .size:           8
        .value_kind:     global_buffer
      - .address_space:  global
        .offset:         8
        .size:           8
        .value_kind:     global_buffer
    .group_segment_fixed_size: 40960
    .kernarg_segment_align: 8
    .kernarg_segment_size: 16
    .language:       OpenCL C
    .language_version:
      - 2
      - 0
    .max_flat_workgroup_size: 1024
    .name:           _Z20warp_exchange_kernelILj1024ELj5ELj8ELN6hipcub21WarpExchangeAlgorithmE0E18BlockedToStripedOpdEvPT4_S4_
    .private_segment_fixed_size: 0
    .sgpr_count:     10
    .sgpr_spill_count: 0
    .symbol:         _Z20warp_exchange_kernelILj1024ELj5ELj8ELN6hipcub21WarpExchangeAlgorithmE0E18BlockedToStripedOpdEvPT4_S4_.kd
    .uniform_work_group_size: 1
    .uses_dynamic_stack: false
    .vgpr_count:     14
    .vgpr_spill_count: 0
    .wavefront_size: 64
  - .agpr_count:     0
    .args:
      - .address_space:  global
        .offset:         0
        .size:           8
        .value_kind:     global_buffer
      - .address_space:  global
        .offset:         8
        .size:           8
        .value_kind:     global_buffer
    .group_segment_fixed_size: 32768
    .kernarg_segment_align: 8
    .kernarg_segment_size: 16
    .language:       OpenCL C
    .language_version:
      - 2
      - 0
    .max_flat_workgroup_size: 1024
    .name:           _Z20warp_exchange_kernelILj1024ELj4ELj8ELN6hipcub21WarpExchangeAlgorithmE0E18BlockedToStripedOpdEvPT4_S4_
    .private_segment_fixed_size: 0
    .sgpr_count:     10
    .sgpr_spill_count: 0
    .symbol:         _Z20warp_exchange_kernelILj1024ELj4ELj8ELN6hipcub21WarpExchangeAlgorithmE0E18BlockedToStripedOpdEvPT4_S4_.kd
    .uniform_work_group_size: 1
    .uses_dynamic_stack: false
    .vgpr_count:     11
    .vgpr_spill_count: 0
    .wavefront_size: 64
  - .agpr_count:     0
    .args:
      - .address_space:  global
        .offset:         0
        .size:           8
        .value_kind:     global_buffer
      - .address_space:  global
        .offset:         8
        .size:           8
        .value_kind:     global_buffer
    .group_segment_fixed_size: 8192
    .kernarg_segment_align: 8
    .kernarg_segment_size: 16
    .language:       OpenCL C
    .language_version:
      - 2
      - 0
    .max_flat_workgroup_size: 1024
    .name:           _Z20warp_exchange_kernelILj1024ELj1ELj8ELN6hipcub21WarpExchangeAlgorithmE0E18BlockedToStripedOpdEvPT4_S4_
    .private_segment_fixed_size: 0
    .sgpr_count:     10
    .sgpr_spill_count: 0
    .symbol:         _Z20warp_exchange_kernelILj1024ELj1ELj8ELN6hipcub21WarpExchangeAlgorithmE0E18BlockedToStripedOpdEvPT4_S4_.kd
    .uniform_work_group_size: 1
    .uses_dynamic_stack: false
    .vgpr_count:     4
    .vgpr_spill_count: 0
    .wavefront_size: 64
  - .agpr_count:     0
    .args:
      - .address_space:  global
        .offset:         0
        .size:           8
        .value_kind:     global_buffer
      - .address_space:  global
        .offset:         8
        .size:           8
        .value_kind:     global_buffer
    .group_segment_fixed_size: 20480
    .kernarg_segment_align: 8
    .kernarg_segment_size: 16
    .language:       OpenCL C
    .language_version:
      - 2
      - 0
    .max_flat_workgroup_size: 1024
    .name:           _Z20warp_exchange_kernelILj1024ELj5ELj64ELN6hipcub21WarpExchangeAlgorithmE0E18BlockedToStripedOpiEvPT4_S4_
    .private_segment_fixed_size: 0
    .sgpr_count:     10
    .sgpr_spill_count: 0
    .symbol:         _Z20warp_exchange_kernelILj1024ELj5ELj64ELN6hipcub21WarpExchangeAlgorithmE0E18BlockedToStripedOpiEvPT4_S4_.kd
    .uniform_work_group_size: 1
    .uses_dynamic_stack: false
    .vgpr_count:     9
    .vgpr_spill_count: 0
    .wavefront_size: 64
  - .agpr_count:     0
    .args:
      - .address_space:  global
        .offset:         0
        .size:           8
        .value_kind:     global_buffer
      - .address_space:  global
        .offset:         8
        .size:           8
        .value_kind:     global_buffer
    .group_segment_fixed_size: 16384
    .kernarg_segment_align: 8
    .kernarg_segment_size: 16
    .language:       OpenCL C
    .language_version:
      - 2
      - 0
    .max_flat_workgroup_size: 1024
    .name:           _Z20warp_exchange_kernelILj1024ELj4ELj64ELN6hipcub21WarpExchangeAlgorithmE0E18BlockedToStripedOpiEvPT4_S4_
    .private_segment_fixed_size: 0
    .sgpr_count:     10
    .sgpr_spill_count: 0
    .symbol:         _Z20warp_exchange_kernelILj1024ELj4ELj64ELN6hipcub21WarpExchangeAlgorithmE0E18BlockedToStripedOpiEvPT4_S4_.kd
    .uniform_work_group_size: 1
    .uses_dynamic_stack: false
    .vgpr_count:     8
    .vgpr_spill_count: 0
    .wavefront_size: 64
  - .agpr_count:     0
    .args:
      - .address_space:  global
        .offset:         0
        .size:           8
        .value_kind:     global_buffer
      - .address_space:  global
        .offset:         8
        .size:           8
        .value_kind:     global_buffer
    .group_segment_fixed_size: 4096
    .kernarg_segment_align: 8
    .kernarg_segment_size: 16
    .language:       OpenCL C
    .language_version:
      - 2
      - 0
    .max_flat_workgroup_size: 1024
    .name:           _Z20warp_exchange_kernelILj1024ELj1ELj64ELN6hipcub21WarpExchangeAlgorithmE0E18BlockedToStripedOpiEvPT4_S4_
    .private_segment_fixed_size: 0
    .sgpr_count:     10
    .sgpr_spill_count: 0
    .symbol:         _Z20warp_exchange_kernelILj1024ELj1ELj64ELN6hipcub21WarpExchangeAlgorithmE0E18BlockedToStripedOpiEvPT4_S4_.kd
    .uniform_work_group_size: 1
    .uses_dynamic_stack: false
    .vgpr_count:     4
    .vgpr_spill_count: 0
    .wavefront_size: 64
  - .agpr_count:     0
    .args:
      - .address_space:  global
        .offset:         0
        .size:           8
        .value_kind:     global_buffer
      - .address_space:  global
        .offset:         8
        .size:           8
        .value_kind:     global_buffer
    .group_segment_fixed_size: 20480
    .kernarg_segment_align: 8
    .kernarg_segment_size: 16
    .language:       OpenCL C
    .language_version:
      - 2
      - 0
    .max_flat_workgroup_size: 1024
    .name:           _Z20warp_exchange_kernelILj1024ELj5ELj32ELN6hipcub21WarpExchangeAlgorithmE0E18BlockedToStripedOpiEvPT4_S4_
    .private_segment_fixed_size: 0
    .sgpr_count:     10
    .sgpr_spill_count: 0
    .symbol:         _Z20warp_exchange_kernelILj1024ELj5ELj32ELN6hipcub21WarpExchangeAlgorithmE0E18BlockedToStripedOpiEvPT4_S4_.kd
    .uniform_work_group_size: 1
    .uses_dynamic_stack: false
    .vgpr_count:     9
    .vgpr_spill_count: 0
    .wavefront_size: 64
  - .agpr_count:     0
    .args:
      - .address_space:  global
        .offset:         0
        .size:           8
        .value_kind:     global_buffer
      - .address_space:  global
        .offset:         8
        .size:           8
        .value_kind:     global_buffer
    .group_segment_fixed_size: 16384
    .kernarg_segment_align: 8
    .kernarg_segment_size: 16
    .language:       OpenCL C
    .language_version:
      - 2
      - 0
    .max_flat_workgroup_size: 1024
    .name:           _Z20warp_exchange_kernelILj1024ELj4ELj32ELN6hipcub21WarpExchangeAlgorithmE0E18BlockedToStripedOpiEvPT4_S4_
    .private_segment_fixed_size: 0
    .sgpr_count:     10
    .sgpr_spill_count: 0
    .symbol:         _Z20warp_exchange_kernelILj1024ELj4ELj32ELN6hipcub21WarpExchangeAlgorithmE0E18BlockedToStripedOpiEvPT4_S4_.kd
    .uniform_work_group_size: 1
    .uses_dynamic_stack: false
    .vgpr_count:     7
    .vgpr_spill_count: 0
    .wavefront_size: 64
  - .agpr_count:     0
    .args:
      - .address_space:  global
        .offset:         0
        .size:           8
        .value_kind:     global_buffer
      - .address_space:  global
        .offset:         8
        .size:           8
        .value_kind:     global_buffer
    .group_segment_fixed_size: 4096
    .kernarg_segment_align: 8
    .kernarg_segment_size: 16
    .language:       OpenCL C
    .language_version:
      - 2
      - 0
    .max_flat_workgroup_size: 1024
    .name:           _Z20warp_exchange_kernelILj1024ELj1ELj32ELN6hipcub21WarpExchangeAlgorithmE0E18BlockedToStripedOpiEvPT4_S4_
    .private_segment_fixed_size: 0
    .sgpr_count:     10
    .sgpr_spill_count: 0
    .symbol:         _Z20warp_exchange_kernelILj1024ELj1ELj32ELN6hipcub21WarpExchangeAlgorithmE0E18BlockedToStripedOpiEvPT4_S4_.kd
    .uniform_work_group_size: 1
    .uses_dynamic_stack: false
    .vgpr_count:     3
    .vgpr_spill_count: 0
    .wavefront_size: 64
  - .agpr_count:     0
    .args:
      - .address_space:  global
        .offset:         0
        .size:           8
        .value_kind:     global_buffer
      - .address_space:  global
        .offset:         8
        .size:           8
        .value_kind:     global_buffer
    .group_segment_fixed_size: 20480
    .kernarg_segment_align: 8
    .kernarg_segment_size: 16
    .language:       OpenCL C
    .language_version:
      - 2
      - 0
    .max_flat_workgroup_size: 1024
    .name:           _Z20warp_exchange_kernelILj1024ELj5ELj16ELN6hipcub21WarpExchangeAlgorithmE0E18BlockedToStripedOpiEvPT4_S4_
    .private_segment_fixed_size: 0
    .sgpr_count:     10
    .sgpr_spill_count: 0
    .symbol:         _Z20warp_exchange_kernelILj1024ELj5ELj16ELN6hipcub21WarpExchangeAlgorithmE0E18BlockedToStripedOpiEvPT4_S4_.kd
    .uniform_work_group_size: 1
    .uses_dynamic_stack: false
    .vgpr_count:     9
    .vgpr_spill_count: 0
    .wavefront_size: 64
  - .agpr_count:     0
    .args:
      - .address_space:  global
        .offset:         0
        .size:           8
        .value_kind:     global_buffer
      - .address_space:  global
        .offset:         8
        .size:           8
        .value_kind:     global_buffer
    .group_segment_fixed_size: 16384
    .kernarg_segment_align: 8
    .kernarg_segment_size: 16
    .language:       OpenCL C
    .language_version:
      - 2
      - 0
    .max_flat_workgroup_size: 1024
    .name:           _Z20warp_exchange_kernelILj1024ELj4ELj16ELN6hipcub21WarpExchangeAlgorithmE0E18BlockedToStripedOpiEvPT4_S4_
    .private_segment_fixed_size: 0
    .sgpr_count:     10
    .sgpr_spill_count: 0
    .symbol:         _Z20warp_exchange_kernelILj1024ELj4ELj16ELN6hipcub21WarpExchangeAlgorithmE0E18BlockedToStripedOpiEvPT4_S4_.kd
    .uniform_work_group_size: 1
    .uses_dynamic_stack: false
    .vgpr_count:     7
    .vgpr_spill_count: 0
    .wavefront_size: 64
  - .agpr_count:     0
    .args:
      - .address_space:  global
        .offset:         0
        .size:           8
        .value_kind:     global_buffer
      - .address_space:  global
        .offset:         8
        .size:           8
        .value_kind:     global_buffer
    .group_segment_fixed_size: 4096
    .kernarg_segment_align: 8
    .kernarg_segment_size: 16
    .language:       OpenCL C
    .language_version:
      - 2
      - 0
    .max_flat_workgroup_size: 1024
    .name:           _Z20warp_exchange_kernelILj1024ELj1ELj16ELN6hipcub21WarpExchangeAlgorithmE0E18BlockedToStripedOpiEvPT4_S4_
    .private_segment_fixed_size: 0
    .sgpr_count:     10
    .sgpr_spill_count: 0
    .symbol:         _Z20warp_exchange_kernelILj1024ELj1ELj16ELN6hipcub21WarpExchangeAlgorithmE0E18BlockedToStripedOpiEvPT4_S4_.kd
    .uniform_work_group_size: 1
    .uses_dynamic_stack: false
    .vgpr_count:     3
    .vgpr_spill_count: 0
    .wavefront_size: 64
  - .agpr_count:     0
    .args:
      - .address_space:  global
        .offset:         0
        .size:           8
        .value_kind:     global_buffer
      - .address_space:  global
        .offset:         8
        .size:           8
        .value_kind:     global_buffer
    .group_segment_fixed_size: 20480
    .kernarg_segment_align: 8
    .kernarg_segment_size: 16
    .language:       OpenCL C
    .language_version:
      - 2
      - 0
    .max_flat_workgroup_size: 1024
    .name:           _Z20warp_exchange_kernelILj1024ELj5ELj8ELN6hipcub21WarpExchangeAlgorithmE0E18BlockedToStripedOpiEvPT4_S4_
    .private_segment_fixed_size: 0
    .sgpr_count:     10
    .sgpr_spill_count: 0
    .symbol:         _Z20warp_exchange_kernelILj1024ELj5ELj8ELN6hipcub21WarpExchangeAlgorithmE0E18BlockedToStripedOpiEvPT4_S4_.kd
    .uniform_work_group_size: 1
    .uses_dynamic_stack: false
    .vgpr_count:     9
    .vgpr_spill_count: 0
    .wavefront_size: 64
  - .agpr_count:     0
    .args:
      - .address_space:  global
        .offset:         0
        .size:           8
        .value_kind:     global_buffer
      - .address_space:  global
        .offset:         8
        .size:           8
        .value_kind:     global_buffer
    .group_segment_fixed_size: 16384
    .kernarg_segment_align: 8
    .kernarg_segment_size: 16
    .language:       OpenCL C
    .language_version:
      - 2
      - 0
    .max_flat_workgroup_size: 1024
    .name:           _Z20warp_exchange_kernelILj1024ELj4ELj8ELN6hipcub21WarpExchangeAlgorithmE0E18BlockedToStripedOpiEvPT4_S4_
    .private_segment_fixed_size: 0
    .sgpr_count:     10
    .sgpr_spill_count: 0
    .symbol:         _Z20warp_exchange_kernelILj1024ELj4ELj8ELN6hipcub21WarpExchangeAlgorithmE0E18BlockedToStripedOpiEvPT4_S4_.kd
    .uniform_work_group_size: 1
    .uses_dynamic_stack: false
    .vgpr_count:     7
    .vgpr_spill_count: 0
    .wavefront_size: 64
  - .agpr_count:     0
    .args:
      - .address_space:  global
        .offset:         0
        .size:           8
        .value_kind:     global_buffer
      - .address_space:  global
        .offset:         8
        .size:           8
        .value_kind:     global_buffer
    .group_segment_fixed_size: 4096
    .kernarg_segment_align: 8
    .kernarg_segment_size: 16
    .language:       OpenCL C
    .language_version:
      - 2
      - 0
    .max_flat_workgroup_size: 1024
    .name:           _Z20warp_exchange_kernelILj1024ELj1ELj8ELN6hipcub21WarpExchangeAlgorithmE0E18BlockedToStripedOpiEvPT4_S4_
    .private_segment_fixed_size: 0
    .sgpr_count:     10
    .sgpr_spill_count: 0
    .symbol:         _Z20warp_exchange_kernelILj1024ELj1ELj8ELN6hipcub21WarpExchangeAlgorithmE0E18BlockedToStripedOpiEvPT4_S4_.kd
    .uniform_work_group_size: 1
    .uses_dynamic_stack: false
    .vgpr_count:     3
    .vgpr_spill_count: 0
    .wavefront_size: 64
  - .agpr_count:     0
    .args:
      - .address_space:  global
        .offset:         0
        .size:           8
        .value_kind:     global_buffer
      - .address_space:  global
        .offset:         8
        .size:           8
        .value_kind:     global_buffer
    .group_segment_fixed_size: 5120
    .kernarg_segment_align: 8
    .kernarg_segment_size: 16
    .language:       OpenCL C
    .language_version:
      - 2
      - 0
    .max_flat_workgroup_size: 1024
    .name:           _Z20warp_exchange_kernelILj1024ELj5ELj64ELN6hipcub21WarpExchangeAlgorithmE0E18BlockedToStripedOpcEvPT4_S4_
    .private_segment_fixed_size: 0
    .sgpr_count:     10
    .sgpr_spill_count: 0
    .symbol:         _Z20warp_exchange_kernelILj1024ELj5ELj64ELN6hipcub21WarpExchangeAlgorithmE0E18BlockedToStripedOpcEvPT4_S4_.kd
    .uniform_work_group_size: 1
    .uses_dynamic_stack: false
    .vgpr_count:     6
    .vgpr_spill_count: 0
    .wavefront_size: 64
  - .agpr_count:     0
    .args:
      - .address_space:  global
        .offset:         0
        .size:           8
        .value_kind:     global_buffer
      - .address_space:  global
        .offset:         8
        .size:           8
        .value_kind:     global_buffer
    .group_segment_fixed_size: 4096
    .kernarg_segment_align: 8
    .kernarg_segment_size: 16
    .language:       OpenCL C
    .language_version:
      - 2
      - 0
    .max_flat_workgroup_size: 1024
    .name:           _Z20warp_exchange_kernelILj1024ELj4ELj64ELN6hipcub21WarpExchangeAlgorithmE0E18BlockedToStripedOpcEvPT4_S4_
    .private_segment_fixed_size: 0
    .sgpr_count:     10
    .sgpr_spill_count: 0
    .symbol:         _Z20warp_exchange_kernelILj1024ELj4ELj64ELN6hipcub21WarpExchangeAlgorithmE0E18BlockedToStripedOpcEvPT4_S4_.kd
    .uniform_work_group_size: 1
    .uses_dynamic_stack: false
    .vgpr_count:     5
    .vgpr_spill_count: 0
    .wavefront_size: 64
  - .agpr_count:     0
    .args:
      - .address_space:  global
        .offset:         0
        .size:           8
        .value_kind:     global_buffer
      - .address_space:  global
        .offset:         8
        .size:           8
        .value_kind:     global_buffer
    .group_segment_fixed_size: 1024
    .kernarg_segment_align: 8
    .kernarg_segment_size: 16
    .language:       OpenCL C
    .language_version:
      - 2
      - 0
    .max_flat_workgroup_size: 1024
    .name:           _Z20warp_exchange_kernelILj1024ELj1ELj64ELN6hipcub21WarpExchangeAlgorithmE0E18BlockedToStripedOpcEvPT4_S4_
    .private_segment_fixed_size: 0
    .sgpr_count:     10
    .sgpr_spill_count: 0
    .symbol:         _Z20warp_exchange_kernelILj1024ELj1ELj64ELN6hipcub21WarpExchangeAlgorithmE0E18BlockedToStripedOpcEvPT4_S4_.kd
    .uniform_work_group_size: 1
    .uses_dynamic_stack: false
    .vgpr_count:     4
    .vgpr_spill_count: 0
    .wavefront_size: 64
  - .agpr_count:     0
    .args:
      - .address_space:  global
        .offset:         0
        .size:           8
        .value_kind:     global_buffer
      - .address_space:  global
        .offset:         8
        .size:           8
        .value_kind:     global_buffer
    .group_segment_fixed_size: 5120
    .kernarg_segment_align: 8
    .kernarg_segment_size: 16
    .language:       OpenCL C
    .language_version:
      - 2
      - 0
    .max_flat_workgroup_size: 1024
    .name:           _Z20warp_exchange_kernelILj1024ELj5ELj32ELN6hipcub21WarpExchangeAlgorithmE0E18BlockedToStripedOpcEvPT4_S4_
    .private_segment_fixed_size: 0
    .sgpr_count:     10
    .sgpr_spill_count: 0
    .symbol:         _Z20warp_exchange_kernelILj1024ELj5ELj32ELN6hipcub21WarpExchangeAlgorithmE0E18BlockedToStripedOpcEvPT4_S4_.kd
    .uniform_work_group_size: 1
    .uses_dynamic_stack: false
    .vgpr_count:     7
    .vgpr_spill_count: 0
    .wavefront_size: 64
  - .agpr_count:     0
    .args:
      - .address_space:  global
        .offset:         0
        .size:           8
        .value_kind:     global_buffer
      - .address_space:  global
        .offset:         8
        .size:           8
        .value_kind:     global_buffer
    .group_segment_fixed_size: 4096
    .kernarg_segment_align: 8
    .kernarg_segment_size: 16
    .language:       OpenCL C
    .language_version:
      - 2
      - 0
    .max_flat_workgroup_size: 1024
    .name:           _Z20warp_exchange_kernelILj1024ELj4ELj32ELN6hipcub21WarpExchangeAlgorithmE0E18BlockedToStripedOpcEvPT4_S4_
    .private_segment_fixed_size: 0
    .sgpr_count:     10
    .sgpr_spill_count: 0
    .symbol:         _Z20warp_exchange_kernelILj1024ELj4ELj32ELN6hipcub21WarpExchangeAlgorithmE0E18BlockedToStripedOpcEvPT4_S4_.kd
    .uniform_work_group_size: 1
    .uses_dynamic_stack: false
    .vgpr_count:     5
    .vgpr_spill_count: 0
    .wavefront_size: 64
  - .agpr_count:     0
    .args:
      - .address_space:  global
        .offset:         0
        .size:           8
        .value_kind:     global_buffer
      - .address_space:  global
        .offset:         8
        .size:           8
        .value_kind:     global_buffer
    .group_segment_fixed_size: 1024
    .kernarg_segment_align: 8
    .kernarg_segment_size: 16
    .language:       OpenCL C
    .language_version:
      - 2
      - 0
    .max_flat_workgroup_size: 1024
    .name:           _Z20warp_exchange_kernelILj1024ELj1ELj32ELN6hipcub21WarpExchangeAlgorithmE0E18BlockedToStripedOpcEvPT4_S4_
    .private_segment_fixed_size: 0
    .sgpr_count:     10
    .sgpr_spill_count: 0
    .symbol:         _Z20warp_exchange_kernelILj1024ELj1ELj32ELN6hipcub21WarpExchangeAlgorithmE0E18BlockedToStripedOpcEvPT4_S4_.kd
    .uniform_work_group_size: 1
    .uses_dynamic_stack: false
    .vgpr_count:     3
    .vgpr_spill_count: 0
    .wavefront_size: 64
  - .agpr_count:     0
    .args:
      - .address_space:  global
        .offset:         0
        .size:           8
        .value_kind:     global_buffer
      - .address_space:  global
        .offset:         8
        .size:           8
        .value_kind:     global_buffer
    .group_segment_fixed_size: 5120
    .kernarg_segment_align: 8
    .kernarg_segment_size: 16
    .language:       OpenCL C
    .language_version:
      - 2
      - 0
    .max_flat_workgroup_size: 1024
    .name:           _Z20warp_exchange_kernelILj1024ELj5ELj16ELN6hipcub21WarpExchangeAlgorithmE0E18BlockedToStripedOpcEvPT4_S4_
    .private_segment_fixed_size: 0
    .sgpr_count:     10
    .sgpr_spill_count: 0
    .symbol:         _Z20warp_exchange_kernelILj1024ELj5ELj16ELN6hipcub21WarpExchangeAlgorithmE0E18BlockedToStripedOpcEvPT4_S4_.kd
    .uniform_work_group_size: 1
    .uses_dynamic_stack: false
    .vgpr_count:     7
    .vgpr_spill_count: 0
    .wavefront_size: 64
  - .agpr_count:     0
    .args:
      - .address_space:  global
        .offset:         0
        .size:           8
        .value_kind:     global_buffer
      - .address_space:  global
        .offset:         8
        .size:           8
        .value_kind:     global_buffer
    .group_segment_fixed_size: 4096
    .kernarg_segment_align: 8
    .kernarg_segment_size: 16
    .language:       OpenCL C
    .language_version:
      - 2
      - 0
    .max_flat_workgroup_size: 1024
    .name:           _Z20warp_exchange_kernelILj1024ELj4ELj16ELN6hipcub21WarpExchangeAlgorithmE0E18BlockedToStripedOpcEvPT4_S4_
    .private_segment_fixed_size: 0
    .sgpr_count:     10
    .sgpr_spill_count: 0
    .symbol:         _Z20warp_exchange_kernelILj1024ELj4ELj16ELN6hipcub21WarpExchangeAlgorithmE0E18BlockedToStripedOpcEvPT4_S4_.kd
    .uniform_work_group_size: 1
    .uses_dynamic_stack: false
    .vgpr_count:     5
    .vgpr_spill_count: 0
    .wavefront_size: 64
  - .agpr_count:     0
    .args:
      - .address_space:  global
        .offset:         0
        .size:           8
        .value_kind:     global_buffer
      - .address_space:  global
        .offset:         8
        .size:           8
        .value_kind:     global_buffer
    .group_segment_fixed_size: 1024
    .kernarg_segment_align: 8
    .kernarg_segment_size: 16
    .language:       OpenCL C
    .language_version:
      - 2
      - 0
    .max_flat_workgroup_size: 1024
    .name:           _Z20warp_exchange_kernelILj1024ELj1ELj16ELN6hipcub21WarpExchangeAlgorithmE0E18BlockedToStripedOpcEvPT4_S4_
    .private_segment_fixed_size: 0
    .sgpr_count:     10
    .sgpr_spill_count: 0
    .symbol:         _Z20warp_exchange_kernelILj1024ELj1ELj16ELN6hipcub21WarpExchangeAlgorithmE0E18BlockedToStripedOpcEvPT4_S4_.kd
    .uniform_work_group_size: 1
    .uses_dynamic_stack: false
    .vgpr_count:     3
    .vgpr_spill_count: 0
    .wavefront_size: 64
  - .agpr_count:     0
    .args:
      - .address_space:  global
        .offset:         0
        .size:           8
        .value_kind:     global_buffer
      - .address_space:  global
        .offset:         8
        .size:           8
        .value_kind:     global_buffer
    .group_segment_fixed_size: 5120
    .kernarg_segment_align: 8
    .kernarg_segment_size: 16
    .language:       OpenCL C
    .language_version:
      - 2
      - 0
    .max_flat_workgroup_size: 1024
    .name:           _Z20warp_exchange_kernelILj1024ELj5ELj8ELN6hipcub21WarpExchangeAlgorithmE0E18BlockedToStripedOpcEvPT4_S4_
    .private_segment_fixed_size: 0
    .sgpr_count:     10
    .sgpr_spill_count: 0
    .symbol:         _Z20warp_exchange_kernelILj1024ELj5ELj8ELN6hipcub21WarpExchangeAlgorithmE0E18BlockedToStripedOpcEvPT4_S4_.kd
    .uniform_work_group_size: 1
    .uses_dynamic_stack: false
    .vgpr_count:     7
    .vgpr_spill_count: 0
    .wavefront_size: 64
  - .agpr_count:     0
    .args:
      - .address_space:  global
        .offset:         0
        .size:           8
        .value_kind:     global_buffer
      - .address_space:  global
        .offset:         8
        .size:           8
        .value_kind:     global_buffer
    .group_segment_fixed_size: 4096
    .kernarg_segment_align: 8
    .kernarg_segment_size: 16
    .language:       OpenCL C
    .language_version:
      - 2
      - 0
    .max_flat_workgroup_size: 1024
    .name:           _Z20warp_exchange_kernelILj1024ELj4ELj8ELN6hipcub21WarpExchangeAlgorithmE0E18BlockedToStripedOpcEvPT4_S4_
    .private_segment_fixed_size: 0
    .sgpr_count:     10
    .sgpr_spill_count: 0
    .symbol:         _Z20warp_exchange_kernelILj1024ELj4ELj8ELN6hipcub21WarpExchangeAlgorithmE0E18BlockedToStripedOpcEvPT4_S4_.kd
    .uniform_work_group_size: 1
    .uses_dynamic_stack: false
    .vgpr_count:     5
    .vgpr_spill_count: 0
    .wavefront_size: 64
  - .agpr_count:     0
    .args:
      - .address_space:  global
        .offset:         0
        .size:           8
        .value_kind:     global_buffer
      - .address_space:  global
        .offset:         8
        .size:           8
        .value_kind:     global_buffer
    .group_segment_fixed_size: 1024
    .kernarg_segment_align: 8
    .kernarg_segment_size: 16
    .language:       OpenCL C
    .language_version:
      - 2
      - 0
    .max_flat_workgroup_size: 1024
    .name:           _Z20warp_exchange_kernelILj1024ELj1ELj8ELN6hipcub21WarpExchangeAlgorithmE0E18BlockedToStripedOpcEvPT4_S4_
    .private_segment_fixed_size: 0
    .sgpr_count:     10
    .sgpr_spill_count: 0
    .symbol:         _Z20warp_exchange_kernelILj1024ELj1ELj8ELN6hipcub21WarpExchangeAlgorithmE0E18BlockedToStripedOpcEvPT4_S4_.kd
    .uniform_work_group_size: 1
    .uses_dynamic_stack: false
    .vgpr_count:     3
    .vgpr_spill_count: 0
    .wavefront_size: 64
  - .agpr_count:     0
    .args:
      - .address_space:  global
        .offset:         0
        .size:           8
        .value_kind:     global_buffer
      - .address_space:  global
        .offset:         8
        .size:           8
        .value_kind:     global_buffer
    .group_segment_fixed_size: 0
    .kernarg_segment_align: 8
    .kernarg_segment_size: 16
    .language:       OpenCL C
    .language_version:
      - 2
      - 0
    .max_flat_workgroup_size: 1024
    .name:           _Z20warp_exchange_kernelILj1024ELj4ELj64ELN6hipcub21WarpExchangeAlgorithmE1E18BlockedToStripedOp6__halfEvPT4_S5_
    .private_segment_fixed_size: 0
    .sgpr_count:     10
    .sgpr_spill_count: 0
    .symbol:         _Z20warp_exchange_kernelILj1024ELj4ELj64ELN6hipcub21WarpExchangeAlgorithmE1E18BlockedToStripedOp6__halfEvPT4_S5_.kd
    .uniform_work_group_size: 1
    .uses_dynamic_stack: false
    .vgpr_count:     19
    .vgpr_spill_count: 0
    .wavefront_size: 64
  - .agpr_count:     0
    .args:
      - .address_space:  global
        .offset:         0
        .size:           8
        .value_kind:     global_buffer
      - .address_space:  global
        .offset:         8
        .size:           8
        .value_kind:     global_buffer
    .group_segment_fixed_size: 0
    .kernarg_segment_align: 8
    .kernarg_segment_size: 16
    .language:       OpenCL C
    .language_version:
      - 2
      - 0
    .max_flat_workgroup_size: 1024
    .name:           _Z20warp_exchange_kernelILj1024ELj1ELj64ELN6hipcub21WarpExchangeAlgorithmE1E18BlockedToStripedOp6__halfEvPT4_S5_
    .private_segment_fixed_size: 0
    .sgpr_count:     10
    .sgpr_spill_count: 0
    .symbol:         _Z20warp_exchange_kernelILj1024ELj1ELj64ELN6hipcub21WarpExchangeAlgorithmE1E18BlockedToStripedOp6__halfEvPT4_S5_.kd
    .uniform_work_group_size: 1
    .uses_dynamic_stack: false
    .vgpr_count:     3
    .vgpr_spill_count: 0
    .wavefront_size: 64
  - .agpr_count:     0
    .args:
      - .address_space:  global
        .offset:         0
        .size:           8
        .value_kind:     global_buffer
      - .address_space:  global
        .offset:         8
        .size:           8
        .value_kind:     global_buffer
    .group_segment_fixed_size: 0
    .kernarg_segment_align: 8
    .kernarg_segment_size: 16
    .language:       OpenCL C
    .language_version:
      - 2
      - 0
    .max_flat_workgroup_size: 1024
    .name:           _Z20warp_exchange_kernelILj1024ELj4ELj32ELN6hipcub21WarpExchangeAlgorithmE1E18BlockedToStripedOp6__halfEvPT4_S5_
    .private_segment_fixed_size: 0
    .sgpr_count:     10
    .sgpr_spill_count: 0
    .symbol:         _Z20warp_exchange_kernelILj1024ELj4ELj32ELN6hipcub21WarpExchangeAlgorithmE1E18BlockedToStripedOp6__halfEvPT4_S5_.kd
    .uniform_work_group_size: 1
    .uses_dynamic_stack: false
    .vgpr_count:     19
    .vgpr_spill_count: 0
    .wavefront_size: 64
  - .agpr_count:     0
    .args:
      - .address_space:  global
        .offset:         0
        .size:           8
        .value_kind:     global_buffer
      - .address_space:  global
        .offset:         8
        .size:           8
        .value_kind:     global_buffer
    .group_segment_fixed_size: 0
    .kernarg_segment_align: 8
    .kernarg_segment_size: 16
    .language:       OpenCL C
    .language_version:
      - 2
      - 0
    .max_flat_workgroup_size: 1024
    .name:           _Z20warp_exchange_kernelILj1024ELj1ELj32ELN6hipcub21WarpExchangeAlgorithmE1E18BlockedToStripedOp6__halfEvPT4_S5_
    .private_segment_fixed_size: 0
    .sgpr_count:     10
    .sgpr_spill_count: 0
    .symbol:         _Z20warp_exchange_kernelILj1024ELj1ELj32ELN6hipcub21WarpExchangeAlgorithmE1E18BlockedToStripedOp6__halfEvPT4_S5_.kd
    .uniform_work_group_size: 1
    .uses_dynamic_stack: false
    .vgpr_count:     3
    .vgpr_spill_count: 0
    .wavefront_size: 64
  - .agpr_count:     0
    .args:
      - .address_space:  global
        .offset:         0
        .size:           8
        .value_kind:     global_buffer
      - .address_space:  global
        .offset:         8
        .size:           8
        .value_kind:     global_buffer
    .group_segment_fixed_size: 0
    .kernarg_segment_align: 8
    .kernarg_segment_size: 16
    .language:       OpenCL C
    .language_version:
      - 2
      - 0
    .max_flat_workgroup_size: 1024
    .name:           _Z20warp_exchange_kernelILj1024ELj4ELj16ELN6hipcub21WarpExchangeAlgorithmE1E18BlockedToStripedOp6__halfEvPT4_S5_
    .private_segment_fixed_size: 0
    .sgpr_count:     10
    .sgpr_spill_count: 0
    .symbol:         _Z20warp_exchange_kernelILj1024ELj4ELj16ELN6hipcub21WarpExchangeAlgorithmE1E18BlockedToStripedOp6__halfEvPT4_S5_.kd
    .uniform_work_group_size: 1
    .uses_dynamic_stack: false
    .vgpr_count:     19
    .vgpr_spill_count: 0
    .wavefront_size: 64
  - .agpr_count:     0
    .args:
      - .address_space:  global
        .offset:         0
        .size:           8
        .value_kind:     global_buffer
      - .address_space:  global
        .offset:         8
        .size:           8
        .value_kind:     global_buffer
    .group_segment_fixed_size: 0
    .kernarg_segment_align: 8
    .kernarg_segment_size: 16
    .language:       OpenCL C
    .language_version:
      - 2
      - 0
    .max_flat_workgroup_size: 1024
    .name:           _Z20warp_exchange_kernelILj1024ELj1ELj16ELN6hipcub21WarpExchangeAlgorithmE1E18BlockedToStripedOp6__halfEvPT4_S5_
    .private_segment_fixed_size: 0
    .sgpr_count:     10
    .sgpr_spill_count: 0
    .symbol:         _Z20warp_exchange_kernelILj1024ELj1ELj16ELN6hipcub21WarpExchangeAlgorithmE1E18BlockedToStripedOp6__halfEvPT4_S5_.kd
    .uniform_work_group_size: 1
    .uses_dynamic_stack: false
    .vgpr_count:     3
    .vgpr_spill_count: 0
    .wavefront_size: 64
  - .agpr_count:     0
    .args:
      - .address_space:  global
        .offset:         0
        .size:           8
        .value_kind:     global_buffer
      - .address_space:  global
        .offset:         8
        .size:           8
        .value_kind:     global_buffer
    .group_segment_fixed_size: 0
    .kernarg_segment_align: 8
    .kernarg_segment_size: 16
    .language:       OpenCL C
    .language_version:
      - 2
      - 0
    .max_flat_workgroup_size: 1024
    .name:           _Z20warp_exchange_kernelILj1024ELj4ELj8ELN6hipcub21WarpExchangeAlgorithmE1E18BlockedToStripedOp6__halfEvPT4_S5_
    .private_segment_fixed_size: 0
    .sgpr_count:     10
    .sgpr_spill_count: 0
    .symbol:         _Z20warp_exchange_kernelILj1024ELj4ELj8ELN6hipcub21WarpExchangeAlgorithmE1E18BlockedToStripedOp6__halfEvPT4_S5_.kd
    .uniform_work_group_size: 1
    .uses_dynamic_stack: false
    .vgpr_count:     19
    .vgpr_spill_count: 0
    .wavefront_size: 64
  - .agpr_count:     0
    .args:
      - .address_space:  global
        .offset:         0
        .size:           8
        .value_kind:     global_buffer
      - .address_space:  global
        .offset:         8
        .size:           8
        .value_kind:     global_buffer
    .group_segment_fixed_size: 0
    .kernarg_segment_align: 8
    .kernarg_segment_size: 16
    .language:       OpenCL C
    .language_version:
      - 2
      - 0
    .max_flat_workgroup_size: 1024
    .name:           _Z20warp_exchange_kernelILj1024ELj1ELj8ELN6hipcub21WarpExchangeAlgorithmE1E18BlockedToStripedOp6__halfEvPT4_S5_
    .private_segment_fixed_size: 0
    .sgpr_count:     10
    .sgpr_spill_count: 0
    .symbol:         _Z20warp_exchange_kernelILj1024ELj1ELj8ELN6hipcub21WarpExchangeAlgorithmE1E18BlockedToStripedOp6__halfEvPT4_S5_.kd
    .uniform_work_group_size: 1
    .uses_dynamic_stack: false
    .vgpr_count:     3
    .vgpr_spill_count: 0
    .wavefront_size: 64
  - .agpr_count:     0
    .args:
      - .address_space:  global
        .offset:         0
        .size:           8
        .value_kind:     global_buffer
      - .address_space:  global
        .offset:         8
        .size:           8
        .value_kind:     global_buffer
    .group_segment_fixed_size: 0
    .kernarg_segment_align: 8
    .kernarg_segment_size: 16
    .language:       OpenCL C
    .language_version:
      - 2
      - 0
    .max_flat_workgroup_size: 1024
    .name:           _Z20warp_exchange_kernelILj1024ELj4ELj64ELN6hipcub21WarpExchangeAlgorithmE1E18BlockedToStripedOpdEvPT4_S4_
    .private_segment_fixed_size: 0
    .sgpr_count:     10
    .sgpr_spill_count: 0
    .symbol:         _Z20warp_exchange_kernelILj1024ELj4ELj64ELN6hipcub21WarpExchangeAlgorithmE1E18BlockedToStripedOpdEvPT4_S4_.kd
    .uniform_work_group_size: 1
    .uses_dynamic_stack: false
    .vgpr_count:     35
    .vgpr_spill_count: 0
    .wavefront_size: 64
  - .agpr_count:     0
    .args:
      - .address_space:  global
        .offset:         0
        .size:           8
        .value_kind:     global_buffer
      - .address_space:  global
        .offset:         8
        .size:           8
        .value_kind:     global_buffer
    .group_segment_fixed_size: 0
    .kernarg_segment_align: 8
    .kernarg_segment_size: 16
    .language:       OpenCL C
    .language_version:
      - 2
      - 0
    .max_flat_workgroup_size: 1024
    .name:           _Z20warp_exchange_kernelILj1024ELj1ELj64ELN6hipcub21WarpExchangeAlgorithmE1E18BlockedToStripedOpdEvPT4_S4_
    .private_segment_fixed_size: 0
    .sgpr_count:     10
    .sgpr_spill_count: 0
    .symbol:         _Z20warp_exchange_kernelILj1024ELj1ELj64ELN6hipcub21WarpExchangeAlgorithmE1E18BlockedToStripedOpdEvPT4_S4_.kd
    .uniform_work_group_size: 1
    .uses_dynamic_stack: false
    .vgpr_count:     4
    .vgpr_spill_count: 0
    .wavefront_size: 64
  - .agpr_count:     0
    .args:
      - .address_space:  global
        .offset:         0
        .size:           8
        .value_kind:     global_buffer
      - .address_space:  global
        .offset:         8
        .size:           8
        .value_kind:     global_buffer
    .group_segment_fixed_size: 0
    .kernarg_segment_align: 8
    .kernarg_segment_size: 16
    .language:       OpenCL C
    .language_version:
      - 2
      - 0
    .max_flat_workgroup_size: 1024
    .name:           _Z20warp_exchange_kernelILj1024ELj4ELj32ELN6hipcub21WarpExchangeAlgorithmE1E18BlockedToStripedOpdEvPT4_S4_
    .private_segment_fixed_size: 0
    .sgpr_count:     10
    .sgpr_spill_count: 0
    .symbol:         _Z20warp_exchange_kernelILj1024ELj4ELj32ELN6hipcub21WarpExchangeAlgorithmE1E18BlockedToStripedOpdEvPT4_S4_.kd
    .uniform_work_group_size: 1
    .uses_dynamic_stack: false
    .vgpr_count:     35
    .vgpr_spill_count: 0
    .wavefront_size: 64
  - .agpr_count:     0
    .args:
      - .address_space:  global
        .offset:         0
        .size:           8
        .value_kind:     global_buffer
      - .address_space:  global
        .offset:         8
        .size:           8
        .value_kind:     global_buffer
    .group_segment_fixed_size: 0
    .kernarg_segment_align: 8
    .kernarg_segment_size: 16
    .language:       OpenCL C
    .language_version:
      - 2
      - 0
    .max_flat_workgroup_size: 1024
    .name:           _Z20warp_exchange_kernelILj1024ELj1ELj32ELN6hipcub21WarpExchangeAlgorithmE1E18BlockedToStripedOpdEvPT4_S4_
    .private_segment_fixed_size: 0
    .sgpr_count:     10
    .sgpr_spill_count: 0
    .symbol:         _Z20warp_exchange_kernelILj1024ELj1ELj32ELN6hipcub21WarpExchangeAlgorithmE1E18BlockedToStripedOpdEvPT4_S4_.kd
    .uniform_work_group_size: 1
    .uses_dynamic_stack: false
    .vgpr_count:     4
    .vgpr_spill_count: 0
    .wavefront_size: 64
  - .agpr_count:     0
    .args:
      - .address_space:  global
        .offset:         0
        .size:           8
        .value_kind:     global_buffer
      - .address_space:  global
        .offset:         8
        .size:           8
        .value_kind:     global_buffer
    .group_segment_fixed_size: 0
    .kernarg_segment_align: 8
    .kernarg_segment_size: 16
    .language:       OpenCL C
    .language_version:
      - 2
      - 0
    .max_flat_workgroup_size: 1024
    .name:           _Z20warp_exchange_kernelILj1024ELj4ELj16ELN6hipcub21WarpExchangeAlgorithmE1E18BlockedToStripedOpdEvPT4_S4_
    .private_segment_fixed_size: 0
    .sgpr_count:     10
    .sgpr_spill_count: 0
    .symbol:         _Z20warp_exchange_kernelILj1024ELj4ELj16ELN6hipcub21WarpExchangeAlgorithmE1E18BlockedToStripedOpdEvPT4_S4_.kd
    .uniform_work_group_size: 1
    .uses_dynamic_stack: false
    .vgpr_count:     35
    .vgpr_spill_count: 0
    .wavefront_size: 64
  - .agpr_count:     0
    .args:
      - .address_space:  global
        .offset:         0
        .size:           8
        .value_kind:     global_buffer
      - .address_space:  global
        .offset:         8
        .size:           8
        .value_kind:     global_buffer
    .group_segment_fixed_size: 0
    .kernarg_segment_align: 8
    .kernarg_segment_size: 16
    .language:       OpenCL C
    .language_version:
      - 2
      - 0
    .max_flat_workgroup_size: 1024
    .name:           _Z20warp_exchange_kernelILj1024ELj1ELj16ELN6hipcub21WarpExchangeAlgorithmE1E18BlockedToStripedOpdEvPT4_S4_
    .private_segment_fixed_size: 0
    .sgpr_count:     10
    .sgpr_spill_count: 0
    .symbol:         _Z20warp_exchange_kernelILj1024ELj1ELj16ELN6hipcub21WarpExchangeAlgorithmE1E18BlockedToStripedOpdEvPT4_S4_.kd
    .uniform_work_group_size: 1
    .uses_dynamic_stack: false
    .vgpr_count:     4
    .vgpr_spill_count: 0
    .wavefront_size: 64
  - .agpr_count:     0
    .args:
      - .address_space:  global
        .offset:         0
        .size:           8
        .value_kind:     global_buffer
      - .address_space:  global
        .offset:         8
        .size:           8
        .value_kind:     global_buffer
    .group_segment_fixed_size: 0
    .kernarg_segment_align: 8
    .kernarg_segment_size: 16
    .language:       OpenCL C
    .language_version:
      - 2
      - 0
    .max_flat_workgroup_size: 1024
    .name:           _Z20warp_exchange_kernelILj1024ELj4ELj8ELN6hipcub21WarpExchangeAlgorithmE1E18BlockedToStripedOpdEvPT4_S4_
    .private_segment_fixed_size: 0
    .sgpr_count:     10
    .sgpr_spill_count: 0
    .symbol:         _Z20warp_exchange_kernelILj1024ELj4ELj8ELN6hipcub21WarpExchangeAlgorithmE1E18BlockedToStripedOpdEvPT4_S4_.kd
    .uniform_work_group_size: 1
    .uses_dynamic_stack: false
    .vgpr_count:     35
    .vgpr_spill_count: 0
    .wavefront_size: 64
  - .agpr_count:     0
    .args:
      - .address_space:  global
        .offset:         0
        .size:           8
        .value_kind:     global_buffer
      - .address_space:  global
        .offset:         8
        .size:           8
        .value_kind:     global_buffer
    .group_segment_fixed_size: 0
    .kernarg_segment_align: 8
    .kernarg_segment_size: 16
    .language:       OpenCL C
    .language_version:
      - 2
      - 0
    .max_flat_workgroup_size: 1024
    .name:           _Z20warp_exchange_kernelILj1024ELj1ELj8ELN6hipcub21WarpExchangeAlgorithmE1E18BlockedToStripedOpdEvPT4_S4_
    .private_segment_fixed_size: 0
    .sgpr_count:     10
    .sgpr_spill_count: 0
    .symbol:         _Z20warp_exchange_kernelILj1024ELj1ELj8ELN6hipcub21WarpExchangeAlgorithmE1E18BlockedToStripedOpdEvPT4_S4_.kd
    .uniform_work_group_size: 1
    .uses_dynamic_stack: false
    .vgpr_count:     4
    .vgpr_spill_count: 0
    .wavefront_size: 64
  - .agpr_count:     0
    .args:
      - .address_space:  global
        .offset:         0
        .size:           8
        .value_kind:     global_buffer
      - .address_space:  global
        .offset:         8
        .size:           8
        .value_kind:     global_buffer
    .group_segment_fixed_size: 0
    .kernarg_segment_align: 8
    .kernarg_segment_size: 16
    .language:       OpenCL C
    .language_version:
      - 2
      - 0
    .max_flat_workgroup_size: 1024
    .name:           _Z20warp_exchange_kernelILj1024ELj4ELj64ELN6hipcub21WarpExchangeAlgorithmE1E18BlockedToStripedOpiEvPT4_S4_
    .private_segment_fixed_size: 0
    .sgpr_count:     10
    .sgpr_spill_count: 0
    .symbol:         _Z20warp_exchange_kernelILj1024ELj4ELj64ELN6hipcub21WarpExchangeAlgorithmE1E18BlockedToStripedOpiEvPT4_S4_.kd
    .uniform_work_group_size: 1
    .uses_dynamic_stack: false
    .vgpr_count:     19
    .vgpr_spill_count: 0
    .wavefront_size: 64
  - .agpr_count:     0
    .args:
      - .address_space:  global
        .offset:         0
        .size:           8
        .value_kind:     global_buffer
      - .address_space:  global
        .offset:         8
        .size:           8
        .value_kind:     global_buffer
    .group_segment_fixed_size: 0
    .kernarg_segment_align: 8
    .kernarg_segment_size: 16
    .language:       OpenCL C
    .language_version:
      - 2
      - 0
    .max_flat_workgroup_size: 1024
    .name:           _Z20warp_exchange_kernelILj1024ELj1ELj64ELN6hipcub21WarpExchangeAlgorithmE1E18BlockedToStripedOpiEvPT4_S4_
    .private_segment_fixed_size: 0
    .sgpr_count:     10
    .sgpr_spill_count: 0
    .symbol:         _Z20warp_exchange_kernelILj1024ELj1ELj64ELN6hipcub21WarpExchangeAlgorithmE1E18BlockedToStripedOpiEvPT4_S4_.kd
    .uniform_work_group_size: 1
    .uses_dynamic_stack: false
    .vgpr_count:     3
    .vgpr_spill_count: 0
    .wavefront_size: 64
  - .agpr_count:     0
    .args:
      - .address_space:  global
        .offset:         0
        .size:           8
        .value_kind:     global_buffer
      - .address_space:  global
        .offset:         8
        .size:           8
        .value_kind:     global_buffer
    .group_segment_fixed_size: 0
    .kernarg_segment_align: 8
    .kernarg_segment_size: 16
    .language:       OpenCL C
    .language_version:
      - 2
      - 0
    .max_flat_workgroup_size: 1024
    .name:           _Z20warp_exchange_kernelILj1024ELj4ELj32ELN6hipcub21WarpExchangeAlgorithmE1E18BlockedToStripedOpiEvPT4_S4_
    .private_segment_fixed_size: 0
    .sgpr_count:     10
    .sgpr_spill_count: 0
    .symbol:         _Z20warp_exchange_kernelILj1024ELj4ELj32ELN6hipcub21WarpExchangeAlgorithmE1E18BlockedToStripedOpiEvPT4_S4_.kd
    .uniform_work_group_size: 1
    .uses_dynamic_stack: false
    .vgpr_count:     19
    .vgpr_spill_count: 0
    .wavefront_size: 64
  - .agpr_count:     0
    .args:
      - .address_space:  global
        .offset:         0
        .size:           8
        .value_kind:     global_buffer
      - .address_space:  global
        .offset:         8
        .size:           8
        .value_kind:     global_buffer
    .group_segment_fixed_size: 0
    .kernarg_segment_align: 8
    .kernarg_segment_size: 16
    .language:       OpenCL C
    .language_version:
      - 2
      - 0
    .max_flat_workgroup_size: 1024
    .name:           _Z20warp_exchange_kernelILj1024ELj1ELj32ELN6hipcub21WarpExchangeAlgorithmE1E18BlockedToStripedOpiEvPT4_S4_
    .private_segment_fixed_size: 0
    .sgpr_count:     10
    .sgpr_spill_count: 0
    .symbol:         _Z20warp_exchange_kernelILj1024ELj1ELj32ELN6hipcub21WarpExchangeAlgorithmE1E18BlockedToStripedOpiEvPT4_S4_.kd
    .uniform_work_group_size: 1
    .uses_dynamic_stack: false
    .vgpr_count:     3
    .vgpr_spill_count: 0
    .wavefront_size: 64
  - .agpr_count:     0
    .args:
      - .address_space:  global
        .offset:         0
        .size:           8
        .value_kind:     global_buffer
      - .address_space:  global
        .offset:         8
        .size:           8
        .value_kind:     global_buffer
    .group_segment_fixed_size: 0
    .kernarg_segment_align: 8
    .kernarg_segment_size: 16
    .language:       OpenCL C
    .language_version:
      - 2
      - 0
    .max_flat_workgroup_size: 1024
    .name:           _Z20warp_exchange_kernelILj1024ELj4ELj16ELN6hipcub21WarpExchangeAlgorithmE1E18BlockedToStripedOpiEvPT4_S4_
    .private_segment_fixed_size: 0
    .sgpr_count:     10
    .sgpr_spill_count: 0
    .symbol:         _Z20warp_exchange_kernelILj1024ELj4ELj16ELN6hipcub21WarpExchangeAlgorithmE1E18BlockedToStripedOpiEvPT4_S4_.kd
    .uniform_work_group_size: 1
    .uses_dynamic_stack: false
    .vgpr_count:     19
    .vgpr_spill_count: 0
    .wavefront_size: 64
  - .agpr_count:     0
    .args:
      - .address_space:  global
        .offset:         0
        .size:           8
        .value_kind:     global_buffer
      - .address_space:  global
        .offset:         8
        .size:           8
        .value_kind:     global_buffer
    .group_segment_fixed_size: 0
    .kernarg_segment_align: 8
    .kernarg_segment_size: 16
    .language:       OpenCL C
    .language_version:
      - 2
      - 0
    .max_flat_workgroup_size: 1024
    .name:           _Z20warp_exchange_kernelILj1024ELj1ELj16ELN6hipcub21WarpExchangeAlgorithmE1E18BlockedToStripedOpiEvPT4_S4_
    .private_segment_fixed_size: 0
    .sgpr_count:     10
    .sgpr_spill_count: 0
    .symbol:         _Z20warp_exchange_kernelILj1024ELj1ELj16ELN6hipcub21WarpExchangeAlgorithmE1E18BlockedToStripedOpiEvPT4_S4_.kd
    .uniform_work_group_size: 1
    .uses_dynamic_stack: false
    .vgpr_count:     3
    .vgpr_spill_count: 0
    .wavefront_size: 64
  - .agpr_count:     0
    .args:
      - .address_space:  global
        .offset:         0
        .size:           8
        .value_kind:     global_buffer
      - .address_space:  global
        .offset:         8
        .size:           8
        .value_kind:     global_buffer
    .group_segment_fixed_size: 0
    .kernarg_segment_align: 8
    .kernarg_segment_size: 16
    .language:       OpenCL C
    .language_version:
      - 2
      - 0
    .max_flat_workgroup_size: 1024
    .name:           _Z20warp_exchange_kernelILj1024ELj4ELj8ELN6hipcub21WarpExchangeAlgorithmE1E18BlockedToStripedOpiEvPT4_S4_
    .private_segment_fixed_size: 0
    .sgpr_count:     10
    .sgpr_spill_count: 0
    .symbol:         _Z20warp_exchange_kernelILj1024ELj4ELj8ELN6hipcub21WarpExchangeAlgorithmE1E18BlockedToStripedOpiEvPT4_S4_.kd
    .uniform_work_group_size: 1
    .uses_dynamic_stack: false
    .vgpr_count:     19
    .vgpr_spill_count: 0
    .wavefront_size: 64
  - .agpr_count:     0
    .args:
      - .address_space:  global
        .offset:         0
        .size:           8
        .value_kind:     global_buffer
      - .address_space:  global
        .offset:         8
        .size:           8
        .value_kind:     global_buffer
    .group_segment_fixed_size: 0
    .kernarg_segment_align: 8
    .kernarg_segment_size: 16
    .language:       OpenCL C
    .language_version:
      - 2
      - 0
    .max_flat_workgroup_size: 1024
    .name:           _Z20warp_exchange_kernelILj1024ELj1ELj8ELN6hipcub21WarpExchangeAlgorithmE1E18BlockedToStripedOpiEvPT4_S4_
    .private_segment_fixed_size: 0
    .sgpr_count:     10
    .sgpr_spill_count: 0
    .symbol:         _Z20warp_exchange_kernelILj1024ELj1ELj8ELN6hipcub21WarpExchangeAlgorithmE1E18BlockedToStripedOpiEvPT4_S4_.kd
    .uniform_work_group_size: 1
    .uses_dynamic_stack: false
    .vgpr_count:     3
    .vgpr_spill_count: 0
    .wavefront_size: 64
  - .agpr_count:     0
    .args:
      - .address_space:  global
        .offset:         0
        .size:           8
        .value_kind:     global_buffer
      - .address_space:  global
        .offset:         8
        .size:           8
        .value_kind:     global_buffer
    .group_segment_fixed_size: 0
    .kernarg_segment_align: 8
    .kernarg_segment_size: 16
    .language:       OpenCL C
    .language_version:
      - 2
      - 0
    .max_flat_workgroup_size: 1024
    .name:           _Z20warp_exchange_kernelILj1024ELj4ELj64ELN6hipcub21WarpExchangeAlgorithmE1E18BlockedToStripedOpcEvPT4_S4_
    .private_segment_fixed_size: 0
    .sgpr_count:     16
    .sgpr_spill_count: 0
    .symbol:         _Z20warp_exchange_kernelILj1024ELj4ELj64ELN6hipcub21WarpExchangeAlgorithmE1E18BlockedToStripedOpcEvPT4_S4_.kd
    .uniform_work_group_size: 1
    .uses_dynamic_stack: false
    .vgpr_count:     19
    .vgpr_spill_count: 0
    .wavefront_size: 64
  - .agpr_count:     0
    .args:
      - .address_space:  global
        .offset:         0
        .size:           8
        .value_kind:     global_buffer
      - .address_space:  global
        .offset:         8
        .size:           8
        .value_kind:     global_buffer
    .group_segment_fixed_size: 0
    .kernarg_segment_align: 8
    .kernarg_segment_size: 16
    .language:       OpenCL C
    .language_version:
      - 2
      - 0
    .max_flat_workgroup_size: 1024
    .name:           _Z20warp_exchange_kernelILj1024ELj1ELj64ELN6hipcub21WarpExchangeAlgorithmE1E18BlockedToStripedOpcEvPT4_S4_
    .private_segment_fixed_size: 0
    .sgpr_count:     10
    .sgpr_spill_count: 0
    .symbol:         _Z20warp_exchange_kernelILj1024ELj1ELj64ELN6hipcub21WarpExchangeAlgorithmE1E18BlockedToStripedOpcEvPT4_S4_.kd
    .uniform_work_group_size: 1
    .uses_dynamic_stack: false
    .vgpr_count:     3
    .vgpr_spill_count: 0
    .wavefront_size: 64
  - .agpr_count:     0
    .args:
      - .address_space:  global
        .offset:         0
        .size:           8
        .value_kind:     global_buffer
      - .address_space:  global
        .offset:         8
        .size:           8
        .value_kind:     global_buffer
    .group_segment_fixed_size: 0
    .kernarg_segment_align: 8
    .kernarg_segment_size: 16
    .language:       OpenCL C
    .language_version:
      - 2
      - 0
    .max_flat_workgroup_size: 1024
    .name:           _Z20warp_exchange_kernelILj1024ELj4ELj32ELN6hipcub21WarpExchangeAlgorithmE1E18BlockedToStripedOpcEvPT4_S4_
    .private_segment_fixed_size: 0
    .sgpr_count:     16
    .sgpr_spill_count: 0
    .symbol:         _Z20warp_exchange_kernelILj1024ELj4ELj32ELN6hipcub21WarpExchangeAlgorithmE1E18BlockedToStripedOpcEvPT4_S4_.kd
    .uniform_work_group_size: 1
    .uses_dynamic_stack: false
    .vgpr_count:     19
    .vgpr_spill_count: 0
    .wavefront_size: 64
  - .agpr_count:     0
    .args:
      - .address_space:  global
        .offset:         0
        .size:           8
        .value_kind:     global_buffer
      - .address_space:  global
        .offset:         8
        .size:           8
        .value_kind:     global_buffer
    .group_segment_fixed_size: 0
    .kernarg_segment_align: 8
    .kernarg_segment_size: 16
    .language:       OpenCL C
    .language_version:
      - 2
      - 0
    .max_flat_workgroup_size: 1024
    .name:           _Z20warp_exchange_kernelILj1024ELj1ELj32ELN6hipcub21WarpExchangeAlgorithmE1E18BlockedToStripedOpcEvPT4_S4_
    .private_segment_fixed_size: 0
    .sgpr_count:     10
    .sgpr_spill_count: 0
    .symbol:         _Z20warp_exchange_kernelILj1024ELj1ELj32ELN6hipcub21WarpExchangeAlgorithmE1E18BlockedToStripedOpcEvPT4_S4_.kd
    .uniform_work_group_size: 1
    .uses_dynamic_stack: false
    .vgpr_count:     3
    .vgpr_spill_count: 0
    .wavefront_size: 64
  - .agpr_count:     0
    .args:
      - .address_space:  global
        .offset:         0
        .size:           8
        .value_kind:     global_buffer
      - .address_space:  global
        .offset:         8
        .size:           8
        .value_kind:     global_buffer
    .group_segment_fixed_size: 0
    .kernarg_segment_align: 8
    .kernarg_segment_size: 16
    .language:       OpenCL C
    .language_version:
      - 2
      - 0
    .max_flat_workgroup_size: 1024
    .name:           _Z20warp_exchange_kernelILj1024ELj4ELj16ELN6hipcub21WarpExchangeAlgorithmE1E18BlockedToStripedOpcEvPT4_S4_
    .private_segment_fixed_size: 0
    .sgpr_count:     16
    .sgpr_spill_count: 0
    .symbol:         _Z20warp_exchange_kernelILj1024ELj4ELj16ELN6hipcub21WarpExchangeAlgorithmE1E18BlockedToStripedOpcEvPT4_S4_.kd
    .uniform_work_group_size: 1
    .uses_dynamic_stack: false
    .vgpr_count:     19
    .vgpr_spill_count: 0
    .wavefront_size: 64
  - .agpr_count:     0
    .args:
      - .address_space:  global
        .offset:         0
        .size:           8
        .value_kind:     global_buffer
      - .address_space:  global
        .offset:         8
        .size:           8
        .value_kind:     global_buffer
    .group_segment_fixed_size: 0
    .kernarg_segment_align: 8
    .kernarg_segment_size: 16
    .language:       OpenCL C
    .language_version:
      - 2
      - 0
    .max_flat_workgroup_size: 1024
    .name:           _Z20warp_exchange_kernelILj1024ELj1ELj16ELN6hipcub21WarpExchangeAlgorithmE1E18BlockedToStripedOpcEvPT4_S4_
    .private_segment_fixed_size: 0
    .sgpr_count:     10
    .sgpr_spill_count: 0
    .symbol:         _Z20warp_exchange_kernelILj1024ELj1ELj16ELN6hipcub21WarpExchangeAlgorithmE1E18BlockedToStripedOpcEvPT4_S4_.kd
    .uniform_work_group_size: 1
    .uses_dynamic_stack: false
    .vgpr_count:     3
    .vgpr_spill_count: 0
    .wavefront_size: 64
  - .agpr_count:     0
    .args:
      - .address_space:  global
        .offset:         0
        .size:           8
        .value_kind:     global_buffer
      - .address_space:  global
        .offset:         8
        .size:           8
        .value_kind:     global_buffer
    .group_segment_fixed_size: 0
    .kernarg_segment_align: 8
    .kernarg_segment_size: 16
    .language:       OpenCL C
    .language_version:
      - 2
      - 0
    .max_flat_workgroup_size: 1024
    .name:           _Z20warp_exchange_kernelILj1024ELj4ELj8ELN6hipcub21WarpExchangeAlgorithmE1E18BlockedToStripedOpcEvPT4_S4_
    .private_segment_fixed_size: 0
    .sgpr_count:     16
    .sgpr_spill_count: 0
    .symbol:         _Z20warp_exchange_kernelILj1024ELj4ELj8ELN6hipcub21WarpExchangeAlgorithmE1E18BlockedToStripedOpcEvPT4_S4_.kd
    .uniform_work_group_size: 1
    .uses_dynamic_stack: false
    .vgpr_count:     19
    .vgpr_spill_count: 0
    .wavefront_size: 64
  - .agpr_count:     0
    .args:
      - .address_space:  global
        .offset:         0
        .size:           8
        .value_kind:     global_buffer
      - .address_space:  global
        .offset:         8
        .size:           8
        .value_kind:     global_buffer
    .group_segment_fixed_size: 0
    .kernarg_segment_align: 8
    .kernarg_segment_size: 16
    .language:       OpenCL C
    .language_version:
      - 2
      - 0
    .max_flat_workgroup_size: 1024
    .name:           _Z20warp_exchange_kernelILj1024ELj1ELj8ELN6hipcub21WarpExchangeAlgorithmE1E18BlockedToStripedOpcEvPT4_S4_
    .private_segment_fixed_size: 0
    .sgpr_count:     10
    .sgpr_spill_count: 0
    .symbol:         _Z20warp_exchange_kernelILj1024ELj1ELj8ELN6hipcub21WarpExchangeAlgorithmE1E18BlockedToStripedOpcEvPT4_S4_.kd
    .uniform_work_group_size: 1
    .uses_dynamic_stack: false
    .vgpr_count:     3
    .vgpr_spill_count: 0
    .wavefront_size: 64
  - .agpr_count:     0
    .args:
      - .address_space:  global
        .offset:         0
        .size:           8
        .value_kind:     global_buffer
      - .address_space:  global
        .offset:         8
        .size:           8
        .value_kind:     global_buffer
      - .address_space:  global
        .offset:         16
        .size:           8
        .value_kind:     global_buffer
    .group_segment_fixed_size: 8192
    .kernarg_segment_align: 8
    .kernarg_segment_size: 24
    .language:       OpenCL C
    .language_version:
      - 2
      - 0
    .max_flat_workgroup_size: 1024
    .name:           _Z39warp_exchange_scatter_to_striped_kernelILj1024ELj4ELj64E6__halfiEvPT2_S2_PT3_
    .private_segment_fixed_size: 0
    .sgpr_count:     12
    .sgpr_spill_count: 0
    .symbol:         _Z39warp_exchange_scatter_to_striped_kernelILj1024ELj4ELj64E6__halfiEvPT2_S2_PT3_.kd
    .uniform_work_group_size: 1
    .uses_dynamic_stack: false
    .vgpr_count:     9
    .vgpr_spill_count: 0
    .wavefront_size: 64
  - .agpr_count:     0
    .args:
      - .address_space:  global
        .offset:         0
        .size:           8
        .value_kind:     global_buffer
      - .address_space:  global
        .offset:         8
        .size:           8
        .value_kind:     global_buffer
      - .address_space:  global
        .offset:         16
        .size:           8
        .value_kind:     global_buffer
    .group_segment_fixed_size: 8192
    .kernarg_segment_align: 8
    .kernarg_segment_size: 24
    .language:       OpenCL C
    .language_version:
      - 2
      - 0
    .max_flat_workgroup_size: 1024
    .name:           _Z39warp_exchange_scatter_to_striped_kernelILj1024ELj4ELj32E6__halfiEvPT2_S2_PT3_
    .private_segment_fixed_size: 0
    .sgpr_count:     12
    .sgpr_spill_count: 0
    .symbol:         _Z39warp_exchange_scatter_to_striped_kernelILj1024ELj4ELj32E6__halfiEvPT2_S2_PT3_.kd
    .uniform_work_group_size: 1
    .uses_dynamic_stack: false
    .vgpr_count:     9
    .vgpr_spill_count: 0
    .wavefront_size: 64
  - .agpr_count:     0
    .args:
      - .address_space:  global
        .offset:         0
        .size:           8
        .value_kind:     global_buffer
      - .address_space:  global
        .offset:         8
        .size:           8
        .value_kind:     global_buffer
      - .address_space:  global
        .offset:         16
        .size:           8
        .value_kind:     global_buffer
    .group_segment_fixed_size: 8192
    .kernarg_segment_align: 8
    .kernarg_segment_size: 24
    .language:       OpenCL C
    .language_version:
      - 2
      - 0
    .max_flat_workgroup_size: 1024
    .name:           _Z39warp_exchange_scatter_to_striped_kernelILj1024ELj4ELj16E6__halfiEvPT2_S2_PT3_
    .private_segment_fixed_size: 0
    .sgpr_count:     12
    .sgpr_spill_count: 0
    .symbol:         _Z39warp_exchange_scatter_to_striped_kernelILj1024ELj4ELj16E6__halfiEvPT2_S2_PT3_.kd
    .uniform_work_group_size: 1
    .uses_dynamic_stack: false
    .vgpr_count:     9
    .vgpr_spill_count: 0
    .wavefront_size: 64
  - .agpr_count:     0
    .args:
      - .address_space:  global
        .offset:         0
        .size:           8
        .value_kind:     global_buffer
      - .address_space:  global
        .offset:         8
        .size:           8
        .value_kind:     global_buffer
      - .address_space:  global
        .offset:         16
        .size:           8
        .value_kind:     global_buffer
    .group_segment_fixed_size: 8192
    .kernarg_segment_align: 8
    .kernarg_segment_size: 24
    .language:       OpenCL C
    .language_version:
      - 2
      - 0
    .max_flat_workgroup_size: 1024
    .name:           _Z39warp_exchange_scatter_to_striped_kernelILj1024ELj4ELj8E6__halfiEvPT2_S2_PT3_
    .private_segment_fixed_size: 0
    .sgpr_count:     12
    .sgpr_spill_count: 0
    .symbol:         _Z39warp_exchange_scatter_to_striped_kernelILj1024ELj4ELj8E6__halfiEvPT2_S2_PT3_.kd
    .uniform_work_group_size: 1
    .uses_dynamic_stack: false
    .vgpr_count:     9
    .vgpr_spill_count: 0
    .wavefront_size: 64
  - .agpr_count:     0
    .args:
      - .address_space:  global
        .offset:         0
        .size:           8
        .value_kind:     global_buffer
      - .address_space:  global
        .offset:         8
        .size:           8
        .value_kind:     global_buffer
      - .address_space:  global
        .offset:         16
        .size:           8
        .value_kind:     global_buffer
    .group_segment_fixed_size: 32768
    .kernarg_segment_align: 8
    .kernarg_segment_size: 24
    .language:       OpenCL C
    .language_version:
      - 2
      - 0
    .max_flat_workgroup_size: 1024
    .name:           _Z39warp_exchange_scatter_to_striped_kernelILj1024ELj4ELj64EdiEvPT2_S1_PT3_
    .private_segment_fixed_size: 0
    .sgpr_count:     12
    .sgpr_spill_count: 0
    .symbol:         _Z39warp_exchange_scatter_to_striped_kernelILj1024ELj4ELj64EdiEvPT2_S1_PT3_.kd
    .uniform_work_group_size: 1
    .uses_dynamic_stack: false
    .vgpr_count:     16
    .vgpr_spill_count: 0
    .wavefront_size: 64
  - .agpr_count:     0
    .args:
      - .address_space:  global
        .offset:         0
        .size:           8
        .value_kind:     global_buffer
      - .address_space:  global
        .offset:         8
        .size:           8
        .value_kind:     global_buffer
      - .address_space:  global
        .offset:         16
        .size:           8
        .value_kind:     global_buffer
    .group_segment_fixed_size: 32768
    .kernarg_segment_align: 8
    .kernarg_segment_size: 24
    .language:       OpenCL C
    .language_version:
      - 2
      - 0
    .max_flat_workgroup_size: 1024
    .name:           _Z39warp_exchange_scatter_to_striped_kernelILj1024ELj4ELj32EdiEvPT2_S1_PT3_
    .private_segment_fixed_size: 0
    .sgpr_count:     12
    .sgpr_spill_count: 0
    .symbol:         _Z39warp_exchange_scatter_to_striped_kernelILj1024ELj4ELj32EdiEvPT2_S1_PT3_.kd
    .uniform_work_group_size: 1
    .uses_dynamic_stack: false
    .vgpr_count:     16
    .vgpr_spill_count: 0
    .wavefront_size: 64
  - .agpr_count:     0
    .args:
      - .address_space:  global
        .offset:         0
        .size:           8
        .value_kind:     global_buffer
      - .address_space:  global
        .offset:         8
        .size:           8
        .value_kind:     global_buffer
      - .address_space:  global
        .offset:         16
        .size:           8
        .value_kind:     global_buffer
    .group_segment_fixed_size: 32768
    .kernarg_segment_align: 8
    .kernarg_segment_size: 24
    .language:       OpenCL C
    .language_version:
      - 2
      - 0
    .max_flat_workgroup_size: 1024
    .name:           _Z39warp_exchange_scatter_to_striped_kernelILj1024ELj4ELj16EdiEvPT2_S1_PT3_
    .private_segment_fixed_size: 0
    .sgpr_count:     12
    .sgpr_spill_count: 0
    .symbol:         _Z39warp_exchange_scatter_to_striped_kernelILj1024ELj4ELj16EdiEvPT2_S1_PT3_.kd
    .uniform_work_group_size: 1
    .uses_dynamic_stack: false
    .vgpr_count:     16
    .vgpr_spill_count: 0
    .wavefront_size: 64
  - .agpr_count:     0
    .args:
      - .address_space:  global
        .offset:         0
        .size:           8
        .value_kind:     global_buffer
      - .address_space:  global
        .offset:         8
        .size:           8
        .value_kind:     global_buffer
      - .address_space:  global
        .offset:         16
        .size:           8
        .value_kind:     global_buffer
    .group_segment_fixed_size: 32768
    .kernarg_segment_align: 8
    .kernarg_segment_size: 24
    .language:       OpenCL C
    .language_version:
      - 2
      - 0
    .max_flat_workgroup_size: 1024
    .name:           _Z39warp_exchange_scatter_to_striped_kernelILj1024ELj4ELj8EdiEvPT2_S1_PT3_
    .private_segment_fixed_size: 0
    .sgpr_count:     12
    .sgpr_spill_count: 0
    .symbol:         _Z39warp_exchange_scatter_to_striped_kernelILj1024ELj4ELj8EdiEvPT2_S1_PT3_.kd
    .uniform_work_group_size: 1
    .uses_dynamic_stack: false
    .vgpr_count:     16
    .vgpr_spill_count: 0
    .wavefront_size: 64
  - .agpr_count:     0
    .args:
      - .address_space:  global
        .offset:         0
        .size:           8
        .value_kind:     global_buffer
      - .address_space:  global
        .offset:         8
        .size:           8
        .value_kind:     global_buffer
      - .address_space:  global
        .offset:         16
        .size:           8
        .value_kind:     global_buffer
    .group_segment_fixed_size: 16384
    .kernarg_segment_align: 8
    .kernarg_segment_size: 24
    .language:       OpenCL C
    .language_version:
      - 2
      - 0
    .max_flat_workgroup_size: 1024
    .name:           _Z39warp_exchange_scatter_to_striped_kernelILj1024ELj4ELj64EiiEvPT2_S1_PT3_
    .private_segment_fixed_size: 0
    .sgpr_count:     12
    .sgpr_spill_count: 0
    .symbol:         _Z39warp_exchange_scatter_to_striped_kernelILj1024ELj4ELj64EiiEvPT2_S1_PT3_.kd
    .uniform_work_group_size: 1
    .uses_dynamic_stack: false
    .vgpr_count:     11
    .vgpr_spill_count: 0
    .wavefront_size: 64
  - .agpr_count:     0
    .args:
      - .address_space:  global
        .offset:         0
        .size:           8
        .value_kind:     global_buffer
      - .address_space:  global
        .offset:         8
        .size:           8
        .value_kind:     global_buffer
      - .address_space:  global
        .offset:         16
        .size:           8
        .value_kind:     global_buffer
    .group_segment_fixed_size: 16384
    .kernarg_segment_align: 8
    .kernarg_segment_size: 24
    .language:       OpenCL C
    .language_version:
      - 2
      - 0
    .max_flat_workgroup_size: 1024
    .name:           _Z39warp_exchange_scatter_to_striped_kernelILj1024ELj4ELj32EiiEvPT2_S1_PT3_
    .private_segment_fixed_size: 0
    .sgpr_count:     12
    .sgpr_spill_count: 0
    .symbol:         _Z39warp_exchange_scatter_to_striped_kernelILj1024ELj4ELj32EiiEvPT2_S1_PT3_.kd
    .uniform_work_group_size: 1
    .uses_dynamic_stack: false
    .vgpr_count:     11
    .vgpr_spill_count: 0
    .wavefront_size: 64
  - .agpr_count:     0
    .args:
      - .address_space:  global
        .offset:         0
        .size:           8
        .value_kind:     global_buffer
      - .address_space:  global
        .offset:         8
        .size:           8
        .value_kind:     global_buffer
      - .address_space:  global
        .offset:         16
        .size:           8
        .value_kind:     global_buffer
    .group_segment_fixed_size: 16384
    .kernarg_segment_align: 8
    .kernarg_segment_size: 24
    .language:       OpenCL C
    .language_version:
      - 2
      - 0
    .max_flat_workgroup_size: 1024
    .name:           _Z39warp_exchange_scatter_to_striped_kernelILj1024ELj4ELj16EiiEvPT2_S1_PT3_
    .private_segment_fixed_size: 0
    .sgpr_count:     12
    .sgpr_spill_count: 0
    .symbol:         _Z39warp_exchange_scatter_to_striped_kernelILj1024ELj4ELj16EiiEvPT2_S1_PT3_.kd
    .uniform_work_group_size: 1
    .uses_dynamic_stack: false
    .vgpr_count:     11
    .vgpr_spill_count: 0
    .wavefront_size: 64
  - .agpr_count:     0
    .args:
      - .address_space:  global
        .offset:         0
        .size:           8
        .value_kind:     global_buffer
      - .address_space:  global
        .offset:         8
        .size:           8
        .value_kind:     global_buffer
      - .address_space:  global
        .offset:         16
        .size:           8
        .value_kind:     global_buffer
    .group_segment_fixed_size: 16384
    .kernarg_segment_align: 8
    .kernarg_segment_size: 24
    .language:       OpenCL C
    .language_version:
      - 2
      - 0
    .max_flat_workgroup_size: 1024
    .name:           _Z39warp_exchange_scatter_to_striped_kernelILj1024ELj4ELj8EiiEvPT2_S1_PT3_
    .private_segment_fixed_size: 0
    .sgpr_count:     12
    .sgpr_spill_count: 0
    .symbol:         _Z39warp_exchange_scatter_to_striped_kernelILj1024ELj4ELj8EiiEvPT2_S1_PT3_.kd
    .uniform_work_group_size: 1
    .uses_dynamic_stack: false
    .vgpr_count:     11
    .vgpr_spill_count: 0
    .wavefront_size: 64
  - .agpr_count:     0
    .args:
      - .address_space:  global
        .offset:         0
        .size:           8
        .value_kind:     global_buffer
      - .address_space:  global
        .offset:         8
        .size:           8
        .value_kind:     global_buffer
      - .address_space:  global
        .offset:         16
        .size:           8
        .value_kind:     global_buffer
    .group_segment_fixed_size: 4096
    .kernarg_segment_align: 8
    .kernarg_segment_size: 24
    .language:       OpenCL C
    .language_version:
      - 2
      - 0
    .max_flat_workgroup_size: 1024
    .name:           _Z39warp_exchange_scatter_to_striped_kernelILj1024ELj4ELj64EciEvPT2_S1_PT3_
    .private_segment_fixed_size: 0
    .sgpr_count:     12
    .sgpr_spill_count: 0
    .symbol:         _Z39warp_exchange_scatter_to_striped_kernelILj1024ELj4ELj64EciEvPT2_S1_PT3_.kd
    .uniform_work_group_size: 1
    .uses_dynamic_stack: false
    .vgpr_count:     10
    .vgpr_spill_count: 0
    .wavefront_size: 64
  - .agpr_count:     0
    .args:
      - .address_space:  global
        .offset:         0
        .size:           8
        .value_kind:     global_buffer
      - .address_space:  global
        .offset:         8
        .size:           8
        .value_kind:     global_buffer
      - .address_space:  global
        .offset:         16
        .size:           8
        .value_kind:     global_buffer
    .group_segment_fixed_size: 4096
    .kernarg_segment_align: 8
    .kernarg_segment_size: 24
    .language:       OpenCL C
    .language_version:
      - 2
      - 0
    .max_flat_workgroup_size: 1024
    .name:           _Z39warp_exchange_scatter_to_striped_kernelILj1024ELj4ELj32EciEvPT2_S1_PT3_
    .private_segment_fixed_size: 0
    .sgpr_count:     12
    .sgpr_spill_count: 0
    .symbol:         _Z39warp_exchange_scatter_to_striped_kernelILj1024ELj4ELj32EciEvPT2_S1_PT3_.kd
    .uniform_work_group_size: 1
    .uses_dynamic_stack: false
    .vgpr_count:     10
    .vgpr_spill_count: 0
    .wavefront_size: 64
  - .agpr_count:     0
    .args:
      - .address_space:  global
        .offset:         0
        .size:           8
        .value_kind:     global_buffer
      - .address_space:  global
        .offset:         8
        .size:           8
        .value_kind:     global_buffer
      - .address_space:  global
        .offset:         16
        .size:           8
        .value_kind:     global_buffer
    .group_segment_fixed_size: 4096
    .kernarg_segment_align: 8
    .kernarg_segment_size: 24
    .language:       OpenCL C
    .language_version:
      - 2
      - 0
    .max_flat_workgroup_size: 1024
    .name:           _Z39warp_exchange_scatter_to_striped_kernelILj1024ELj4ELj16EciEvPT2_S1_PT3_
    .private_segment_fixed_size: 0
    .sgpr_count:     12
    .sgpr_spill_count: 0
    .symbol:         _Z39warp_exchange_scatter_to_striped_kernelILj1024ELj4ELj16EciEvPT2_S1_PT3_.kd
    .uniform_work_group_size: 1
    .uses_dynamic_stack: false
    .vgpr_count:     10
    .vgpr_spill_count: 0
    .wavefront_size: 64
  - .agpr_count:     0
    .args:
      - .address_space:  global
        .offset:         0
        .size:           8
        .value_kind:     global_buffer
      - .address_space:  global
        .offset:         8
        .size:           8
        .value_kind:     global_buffer
      - .address_space:  global
        .offset:         16
        .size:           8
        .value_kind:     global_buffer
    .group_segment_fixed_size: 4096
    .kernarg_segment_align: 8
    .kernarg_segment_size: 24
    .language:       OpenCL C
    .language_version:
      - 2
      - 0
    .max_flat_workgroup_size: 1024
    .name:           _Z39warp_exchange_scatter_to_striped_kernelILj1024ELj4ELj8EciEvPT2_S1_PT3_
    .private_segment_fixed_size: 0
    .sgpr_count:     12
    .sgpr_spill_count: 0
    .symbol:         _Z39warp_exchange_scatter_to_striped_kernelILj1024ELj4ELj8EciEvPT2_S1_PT3_.kd
    .uniform_work_group_size: 1
    .uses_dynamic_stack: false
    .vgpr_count:     10
    .vgpr_spill_count: 0
    .wavefront_size: 64
amdhsa.target:   amdgcn-amd-amdhsa--gfx90a
amdhsa.version:
  - 1
  - 2
...

	.end_amdgpu_metadata
